;; amdgpu-corpus repo=ROCm/rocFFT kind=compiled arch=gfx906 opt=O3
	.text
	.amdgcn_target "amdgcn-amd-amdhsa--gfx906"
	.amdhsa_code_object_version 6
	.protected	bluestein_single_back_len850_dim1_half_op_CI_CI ; -- Begin function bluestein_single_back_len850_dim1_half_op_CI_CI
	.globl	bluestein_single_back_len850_dim1_half_op_CI_CI
	.p2align	8
	.type	bluestein_single_back_len850_dim1_half_op_CI_CI,@function
bluestein_single_back_len850_dim1_half_op_CI_CI: ; @bluestein_single_back_len850_dim1_half_op_CI_CI
; %bb.0:
	s_load_dwordx4 s[8:11], s[4:5], 0x28
	s_mov_b64 s[38:39], s[2:3]
	v_mul_u32_u24_e32 v1, 0x304, v0
	s_mov_b64 s[36:37], s[0:1]
	v_add_u32_sdwa v24, s6, v1 dst_sel:DWORD dst_unused:UNUSED_PAD src0_sel:DWORD src1_sel:WORD_1
	v_mov_b32_e32 v25, 0
	s_add_u32 s36, s36, s7
	s_waitcnt lgkmcnt(0)
	v_cmp_gt_u64_e32 vcc, s[8:9], v[24:25]
	s_addc_u32 s37, s37, 0
	s_and_saveexec_b64 s[0:1], vcc
	s_cbranch_execz .LBB0_10
; %bb.1:
	s_load_dwordx4 s[0:3], s[4:5], 0x18
	s_load_dwordx4 s[12:15], s[4:5], 0x0
	s_mov_b32 s6, 0xb8b4
	s_movk_i32 s7, 0x3a79
                                        ; implicit-def: $vgpr68
                                        ; implicit-def: $vgpr69
                                        ; implicit-def: $vgpr70
                                        ; implicit-def: $vgpr71
                                        ; implicit-def: $vgpr84
                                        ; implicit-def: $vgpr87
                                        ; implicit-def: $vgpr86
                                        ; implicit-def: $vgpr92
	s_waitcnt lgkmcnt(0)
	s_load_dwordx4 s[16:19], s[0:1], 0x0
	s_movk_i32 s0, 0x55
	v_mul_lo_u16_sdwa v1, v1, s0 dst_sel:DWORD dst_unused:UNUSED_PAD src0_sel:WORD_1 src1_sel:DWORD
	v_sub_u16_e32 v53, v0, v1
	v_lshlrev_b32_e32 v44, 2, v53
	s_waitcnt lgkmcnt(0)
	v_mad_u64_u32 v[0:1], s[0:1], s18, v24, 0
	v_mad_u64_u32 v[2:3], s[0:1], s16, v53, 0
	global_load_dword v54, v44, s[12:13]
	v_mad_u64_u32 v[4:5], s[0:1], s19, v24, v[1:2]
	v_mad_u64_u32 v[5:6], s[0:1], s17, v53, v[3:4]
	v_mov_b32_e32 v1, v4
	v_lshlrev_b64 v[0:1], 2, v[0:1]
	v_mov_b32_e32 v6, s11
	v_mov_b32_e32 v3, v5
	v_add_co_u32_e32 v4, vcc, s10, v0
	v_addc_co_u32_e32 v5, vcc, v6, v1, vcc
	v_lshlrev_b64 v[0:1], 2, v[2:3]
	s_mul_i32 s0, s17, 0x154
	v_add_co_u32_e32 v0, vcc, v4, v0
	s_mul_hi_u32 s1, s16, 0x154
	v_addc_co_u32_e32 v1, vcc, v5, v1, vcc
	s_add_i32 s0, s1, s0
	s_mul_i32 s1, s16, 0x154
	global_load_dword v2, v[0:1], off
	v_mov_b32_e32 v3, s0
	v_add_co_u32_e32 v0, vcc, s1, v0
	v_addc_co_u32_e32 v1, vcc, v1, v3, vcc
	global_load_dword v3, v[0:1], off
	global_load_dword v52, v44, s[12:13] offset:340
	v_mov_b32_e32 v4, s0
	v_add_co_u32_e32 v0, vcc, s1, v0
	v_addc_co_u32_e32 v1, vcc, v1, v4, vcc
	global_load_dword v4, v[0:1], off
	global_load_dword v51, v44, s[12:13] offset:680
	;; [unrolled: 5-line block ×6, first 2 shown]
	v_add_co_u32_e32 v0, vcc, s1, v0
	v_addc_co_u32_e32 v1, vcc, v1, v8, vcc
	global_load_dword v10, v[0:1], off
	global_load_dword v46, v44, s[12:13] offset:2380
	v_add_co_u32_e32 v0, vcc, s1, v0
	v_addc_co_u32_e32 v1, vcc, v1, v8, vcc
	global_load_dword v11, v[0:1], off
	global_load_dword v45, v44, s[12:13] offset:2720
	;; [unrolled: 4-line block ×3, first 2 shown]
	s_load_dwordx4 s[8:11], s[2:3], 0x0
	s_movk_i32 s0, 0x3b9c
	s_mov_b32 s3, 0xbb9c
	s_movk_i32 s1, 0x38b4
	s_movk_i32 s2, 0x34f2
	s_waitcnt vmcnt(18)
	v_lshrrev_b32_e32 v0, 16, v2
	v_mul_f16_sdwa v1, v54, v2 dst_sel:DWORD dst_unused:UNUSED_PAD src0_sel:WORD_1 src1_sel:DWORD
	v_mul_f16_sdwa v8, v54, v0 dst_sel:DWORD dst_unused:UNUSED_PAD src0_sel:WORD_1 src1_sel:DWORD
	v_fma_f16 v0, v54, v0, -v1
	v_fma_f16 v2, v54, v2, v8
	s_waitcnt vmcnt(17)
	v_lshrrev_b32_e32 v1, 16, v3
	s_waitcnt vmcnt(16)
	v_mul_f16_sdwa v8, v52, v1 dst_sel:DWORD dst_unused:UNUSED_PAD src0_sel:WORD_1 src1_sel:DWORD
	v_pack_b32_f16 v0, v2, v0
	v_fma_f16 v2, v52, v3, v8
	v_mul_f16_sdwa v3, v52, v3 dst_sel:DWORD dst_unused:UNUSED_PAD src0_sel:WORD_1 src1_sel:DWORD
	v_fma_f16 v1, v52, v1, -v3
	v_pack_b32_f16 v1, v2, v1
	ds_write2_b32 v44, v0, v1 offset1:85
	s_waitcnt vmcnt(15)
	v_lshrrev_b32_e32 v0, 16, v4
	s_waitcnt vmcnt(14)
	v_mul_f16_sdwa v1, v51, v0 dst_sel:DWORD dst_unused:UNUSED_PAD src0_sel:WORD_1 src1_sel:DWORD
	v_mul_f16_sdwa v2, v51, v4 dst_sel:DWORD dst_unused:UNUSED_PAD src0_sel:WORD_1 src1_sel:DWORD
	v_fma_f16 v1, v51, v4, v1
	v_fma_f16 v0, v51, v0, -v2
	v_pack_b32_f16 v0, v1, v0
	s_waitcnt vmcnt(13)
	v_lshrrev_b32_e32 v1, 16, v5
	s_waitcnt vmcnt(12)
	v_mul_f16_sdwa v2, v50, v1 dst_sel:DWORD dst_unused:UNUSED_PAD src0_sel:WORD_1 src1_sel:DWORD
	v_mul_f16_sdwa v3, v50, v5 dst_sel:DWORD dst_unused:UNUSED_PAD src0_sel:WORD_1 src1_sel:DWORD
	v_fma_f16 v2, v50, v5, v2
	v_fma_f16 v1, v50, v1, -v3
	v_pack_b32_f16 v1, v2, v1
	ds_write2_b32 v44, v0, v1 offset0:170 offset1:255
	s_waitcnt vmcnt(11)
	v_lshrrev_b32_e32 v0, 16, v6
	s_waitcnt vmcnt(10)
	v_mul_f16_sdwa v1, v49, v0 dst_sel:DWORD dst_unused:UNUSED_PAD src0_sel:WORD_1 src1_sel:DWORD
	v_mul_f16_sdwa v2, v49, v6 dst_sel:DWORD dst_unused:UNUSED_PAD src0_sel:WORD_1 src1_sel:DWORD
	v_fma_f16 v1, v49, v6, v1
	v_fma_f16 v0, v49, v0, -v2
	v_pack_b32_f16 v0, v1, v0
	s_waitcnt vmcnt(9)
	v_lshrrev_b32_e32 v1, 16, v7
	s_waitcnt vmcnt(8)
	v_mul_f16_sdwa v2, v48, v1 dst_sel:DWORD dst_unused:UNUSED_PAD src0_sel:WORD_1 src1_sel:DWORD
	v_mul_f16_sdwa v3, v48, v7 dst_sel:DWORD dst_unused:UNUSED_PAD src0_sel:WORD_1 src1_sel:DWORD
	v_fma_f16 v2, v48, v7, v2
	v_fma_f16 v1, v48, v1, -v3
	v_pack_b32_f16 v1, v2, v1
	v_add_u32_e32 v8, 0x400, v44
	ds_write2_b32 v8, v0, v1 offset0:84 offset1:169
	s_waitcnt vmcnt(7)
	v_lshrrev_b32_e32 v0, 16, v9
	s_waitcnt vmcnt(6)
	v_mul_f16_sdwa v1, v47, v0 dst_sel:DWORD dst_unused:UNUSED_PAD src0_sel:WORD_1 src1_sel:DWORD
	v_mul_f16_sdwa v2, v47, v9 dst_sel:DWORD dst_unused:UNUSED_PAD src0_sel:WORD_1 src1_sel:DWORD
	v_fma_f16 v1, v47, v9, v1
	v_fma_f16 v0, v47, v0, -v2
	v_pack_b32_f16 v0, v1, v0
	s_waitcnt vmcnt(5)
	v_lshrrev_b32_e32 v1, 16, v10
	s_waitcnt vmcnt(4)
	v_mul_f16_sdwa v2, v46, v1 dst_sel:DWORD dst_unused:UNUSED_PAD src0_sel:WORD_1 src1_sel:DWORD
	v_mul_f16_sdwa v3, v46, v10 dst_sel:DWORD dst_unused:UNUSED_PAD src0_sel:WORD_1 src1_sel:DWORD
	v_fma_f16 v2, v46, v10, v2
	v_fma_f16 v1, v46, v1, -v3
	v_pack_b32_f16 v1, v2, v1
	v_add_u32_e32 v10, 0x600, v44
	;; [unrolled: 18-line block ×3, first 2 shown]
	ds_write2_b32 v9, v0, v1 offset0:168 offset1:253
	s_waitcnt lgkmcnt(0)
	s_barrier
	ds_read2_b32 v[0:1], v44 offset1:85
	ds_read2_b32 v[2:3], v8 offset0:84 offset1:169
	ds_read2_b32 v[4:5], v10 offset0:126 offset1:211
	ds_read2_b32 v[6:7], v44 offset0:170 offset1:255
	s_waitcnt lgkmcnt(1)
	v_add_f16_e32 v13, v2, v4
	s_waitcnt lgkmcnt(0)
	v_pk_add_f16 v11, v0, v6
	v_pk_add_f16 v14, v11, v2
	;; [unrolled: 1-line block ×4, first 2 shown]
	ds_read2_b32 v[11:12], v9 offset0:168 offset1:253
	v_pk_add_f16 v15, v15, v5
	v_sub_f16_sdwa v16, v2, v4 dst_sel:DWORD dst_unused:UNUSED_PAD src0_sel:WORD_1 src1_sel:WORD_1
	v_sub_f16_e32 v17, v6, v2
	v_sub_f16_e32 v18, v2, v6
	s_waitcnt lgkmcnt(0)
	v_add_f16_e32 v31, v6, v11
	v_add_f16_sdwa v19, v2, v4 dst_sel:DWORD dst_unused:UNUSED_PAD src0_sel:WORD_1 src1_sel:WORD_1
	v_sub_f16_e32 v20, v2, v4
	v_sub_f16_sdwa v21, v6, v2 dst_sel:DWORD dst_unused:UNUSED_PAD src0_sel:WORD_1 src1_sel:WORD_1
	v_sub_f16_sdwa v2, v2, v6 dst_sel:DWORD dst_unused:UNUSED_PAD src0_sel:WORD_1 src1_sel:WORD_1
	v_add_f16_e32 v22, v3, v5
	v_sub_f16_sdwa v23, v3, v5 dst_sel:DWORD dst_unused:UNUSED_PAD src0_sel:WORD_1 src1_sel:WORD_1
	v_sub_f16_e32 v25, v7, v3
	v_sub_f16_e32 v26, v3, v7
	v_add_f16_sdwa v27, v3, v5 dst_sel:DWORD dst_unused:UNUSED_PAD src0_sel:WORD_1 src1_sel:WORD_1
	v_sub_f16_e32 v28, v3, v5
	v_sub_f16_sdwa v29, v7, v3 dst_sel:DWORD dst_unused:UNUSED_PAD src0_sel:WORD_1 src1_sel:WORD_1
	v_sub_f16_sdwa v3, v3, v7 dst_sel:DWORD dst_unused:UNUSED_PAD src0_sel:WORD_1 src1_sel:WORD_1
	;; [unrolled: 1-line block ×3, first 2 shown]
	v_add_f16_e32 v34, v7, v12
	v_sub_f16_e32 v35, v7, v12
	v_add_f16_sdwa v7, v7, v12 dst_sel:DWORD dst_unused:UNUSED_PAD src0_sel:WORD_1 src1_sel:WORD_1
	v_pk_add_f16 v14, v14, v4
	v_sub_f16_e32 v36, v11, v4
	v_sub_f16_e32 v37, v4, v11
	v_sub_f16_sdwa v38, v11, v4 dst_sel:DWORD dst_unused:UNUSED_PAD src0_sel:WORD_1 src1_sel:WORD_1
	v_sub_f16_sdwa v4, v4, v11 dst_sel:DWORD dst_unused:UNUSED_PAD src0_sel:WORD_1 src1_sel:WORD_1
	v_sub_f16_e32 v39, v12, v5
	v_sub_f16_e32 v40, v5, v12
	v_sub_f16_sdwa v41, v12, v5 dst_sel:DWORD dst_unused:UNUSED_PAD src0_sel:WORD_1 src1_sel:WORD_1
	v_sub_f16_sdwa v5, v5, v12 dst_sel:DWORD dst_unused:UNUSED_PAD src0_sel:WORD_1 src1_sel:WORD_1
	v_pk_add_f16 v12, v15, v12
	v_fma_f16 v15, v31, -0.5, v0
	v_sub_f16_sdwa v30, v6, v11 dst_sel:DWORD dst_unused:UNUSED_PAD src0_sel:WORD_1 src1_sel:WORD_1
	v_sub_f16_e32 v32, v6, v11
	v_add_f16_sdwa v6, v6, v11 dst_sel:DWORD dst_unused:UNUSED_PAD src0_sel:WORD_1 src1_sel:WORD_1
	v_pk_add_f16 v11, v14, v11
	v_add_f16_e32 v14, v18, v37
	v_fma_f16 v18, v16, s3, v15
	v_fma_f16 v15, v16, s0, v15
	v_add_f16_e32 v2, v2, v4
	v_lshrrev_b32_e32 v4, 16, v0
	v_fma_f16 v18, v30, s1, v18
	v_fma_f16 v15, v30, s6, v15
	v_fma_f16 v6, v6, -0.5, v4
	v_fma_f16 v18, v14, s2, v18
	v_fma_f16 v14, v14, s2, v15
	;; [unrolled: 1-line block ×8, first 2 shown]
	v_add_f16_e32 v2, v26, v40
	v_fma_f16 v26, v34, -0.5, v1
	v_fma_f16 v31, v23, s3, v26
	v_fma_f16 v26, v23, s0, v26
	;; [unrolled: 1-line block ×6, first 2 shown]
	v_lshrrev_b32_e32 v26, 16, v1
	v_fma_f16 v22, v22, -0.5, v1
	v_fma_f16 v1, v7, -0.5, v26
	;; [unrolled: 1-line block ×3, first 2 shown]
	v_add_f16_e32 v0, v3, v5
	v_fma_f16 v3, v28, s0, v1
	v_fma_f16 v3, v35, s6, v3
	;; [unrolled: 1-line block ×6, first 2 shown]
	v_mul_f16_e32 v1, 0x3b9c, v3
	v_fma_f16 v5, v31, s2, v1
	v_mul_f16_e32 v1, 0xbb9c, v31
	v_fma_f16 v7, v3, s2, v1
	v_mul_f16_e32 v1, 0x34f2, v2
	v_fma_f16 v31, v0, s0, -v1
	v_mul_f16_e32 v0, 0x34f2, v0
	v_fma_f16 v34, v2, s3, -v0
	v_add_f16_e32 v0, v14, v31
	v_add_f16_e32 v1, v6, v34
	v_pack_b32_f16 v1, v0, v1
	v_add_f16_e32 v0, v18, v5
	v_add_f16_e32 v2, v15, v7
	v_pack_b32_f16 v0, v0, v2
	v_fma_f16 v4, v19, -0.5, v4
	v_add_f16_e32 v19, v21, v38
	v_add_f16_e32 v21, v25, v39
	v_fma_f16 v25, v27, -0.5, v26
	v_fma_f16 v2, v33, s0, v22
	v_fma_f16 v2, v23, s1, v2
	;; [unrolled: 1-line block ×3, first 2 shown]
	v_add_f16_e32 v26, v29, v41
	v_fma_f16 v2, v21, s2, v2
	v_fma_f16 v3, v28, s6, v3
	;; [unrolled: 1-line block ×3, first 2 shown]
	v_mul_f16_e32 v27, 0x3a79, v2
	v_mul_f16_e32 v2, 0xb8b4, v2
	v_fma_f16 v29, v3, s7, v2
	v_mul_lo_u16_e32 v2, 10, v53
	v_lshlrev_b32_e32 v55, 2, v2
	v_fma_f16 v2, v30, s0, v13
	v_add_f16_e32 v17, v17, v36
	v_fma_f16 v2, v16, s1, v2
	v_fma_f16 v36, v17, s2, v2
	;; [unrolled: 1-line block ×6, first 2 shown]
	v_add_f16_e32 v2, v36, v27
	v_add_f16_e32 v3, v37, v29
	v_pack_b32_f16 v3, v2, v3
	v_pk_add_f16 v2, v11, v12
	s_barrier
	ds_write2_b64 v55, v[2:3], v[0:1] offset1:1
	v_sub_f16_e32 v1, v18, v5
	v_sub_f16_e32 v3, v15, v7
	v_pack_b32_f16 v1, v1, v3
	v_fma_f16 v3, v32, s0, v4
	v_fma_f16 v4, v33, s3, v22
	;; [unrolled: 1-line block ×4, first 2 shown]
	v_sub_f16_e32 v0, v36, v27
	v_sub_f16_e32 v2, v37, v29
	v_fma_f16 v4, v21, s2, v4
	v_fma_f16 v5, v28, s1, v5
	v_pack_b32_f16 v0, v0, v2
	v_fma_f16 v2, v30, s3, v13
	v_fma_f16 v5, v26, s2, v5
	v_mul_f16_e32 v7, 0x3a79, v4
	v_fma_f16 v2, v16, s6, v2
	v_fma_f16 v3, v20, s1, v3
	v_fma_f16 v7, v5, s1, -v7
	v_mul_f16_e32 v5, 0x3a79, v5
	v_fma_f16 v2, v17, s2, v2
	v_fma_f16 v3, v19, s2, v3
	v_fma_f16 v4, v4, s6, -v5
	v_add_f16_e32 v13, v2, v7
	v_sub_f16_e32 v7, v2, v7
	v_add_f16_e32 v2, v3, v4
	v_sub_f16_e32 v5, v14, v31
	v_sub_f16_e32 v6, v6, v34
	;; [unrolled: 1-line block ×3, first 2 shown]
	v_pk_add_f16 v3, v11, v12 neg_lo:[0,1] neg_hi:[0,1]
	v_pack_b32_f16 v2, v13, v2
	ds_write2_b64 v55, v[2:3], v[0:1] offset0:2 offset1:3
	v_pack_b32_f16 v1, v7, v4
	v_pack_b32_f16 v0, v5, v6
	s_movk_i32 s7, 0xcd
	ds_write_b64 v55, v[0:1] offset:32
	v_mul_lo_u16_sdwa v0, v53, s7 dst_sel:DWORD dst_unused:UNUSED_PAD src0_sel:BYTE_0 src1_sel:DWORD
	v_lshrrev_b16_e32 v21, 11, v0
	v_mul_lo_u16_e32 v0, 10, v21
	v_sub_u16_e32 v0, v53, v0
	v_and_b32_e32 v22, 0xff, v0
	v_lshlrev_b32_e32 v0, 4, v22
	s_waitcnt lgkmcnt(0)
	s_barrier
	global_load_dwordx4 v[4:7], v0, s[14:15]
	v_add_u16_e32 v0, 0x55, v53
	v_mul_lo_u16_sdwa v1, v0, s7 dst_sel:DWORD dst_unused:UNUSED_PAD src0_sel:BYTE_0 src1_sel:DWORD
	v_lshrrev_b16_e32 v23, 11, v1
	v_mul_lo_u16_e32 v1, 10, v23
	v_sub_u16_e32 v0, v0, v1
	v_and_b32_e32 v27, 0xff, v0
	v_lshlrev_b32_e32 v0, 4, v27
	global_load_dwordx4 v[0:3], v0, s[14:15]
	ds_read2_b32 v[11:12], v44 offset0:170 offset1:255
	ds_read2_b32 v[13:14], v8 offset0:84 offset1:169
	s_waitcnt lgkmcnt(1)
	v_lshrrev_b32_e32 v15, 16, v11
	s_waitcnt lgkmcnt(0)
	v_lshrrev_b32_e32 v17, 16, v13
	s_waitcnt vmcnt(1)
	v_mul_f16_sdwa v16, v11, v4 dst_sel:DWORD dst_unused:UNUSED_PAD src0_sel:DWORD src1_sel:WORD_1
	v_fma_f16 v28, v15, v4, v16
	v_mul_f16_sdwa v15, v15, v4 dst_sel:DWORD dst_unused:UNUSED_PAD src0_sel:DWORD src1_sel:WORD_1
	v_fma_f16 v11, v11, v4, -v15
	ds_read2_b32 v[15:16], v10 offset0:126 offset1:211
	v_mul_f16_sdwa v18, v13, v5 dst_sel:DWORD dst_unused:UNUSED_PAD src0_sel:DWORD src1_sel:WORD_1
	v_fma_f16 v35, v17, v5, v18
	v_mul_f16_sdwa v17, v17, v5 dst_sel:DWORD dst_unused:UNUSED_PAD src0_sel:DWORD src1_sel:WORD_1
	v_fma_f16 v13, v13, v5, -v17
	ds_read2_b32 v[17:18], v9 offset0:168 offset1:253
	s_waitcnt lgkmcnt(1)
	v_lshrrev_b32_e32 v19, 16, v15
	v_mul_f16_sdwa v20, v15, v6 dst_sel:DWORD dst_unused:UNUSED_PAD src0_sel:DWORD src1_sel:WORD_1
	v_fma_f16 v36, v19, v6, v20
	v_mul_f16_sdwa v19, v19, v6 dst_sel:DWORD dst_unused:UNUSED_PAD src0_sel:DWORD src1_sel:WORD_1
	v_fma_f16 v15, v15, v6, -v19
	s_waitcnt lgkmcnt(0)
	v_lshrrev_b32_e32 v19, 16, v17
	v_mul_f16_sdwa v20, v17, v7 dst_sel:DWORD dst_unused:UNUSED_PAD src0_sel:DWORD src1_sel:WORD_1
	v_fma_f16 v37, v19, v7, v20
	v_mul_f16_sdwa v19, v19, v7 dst_sel:DWORD dst_unused:UNUSED_PAD src0_sel:DWORD src1_sel:WORD_1
	v_fma_f16 v17, v17, v7, -v19
	ds_read2_b32 v[19:20], v44 offset1:85
	v_sub_f16_e32 v25, v13, v11
	v_sub_f16_e32 v26, v15, v17
	v_add_f16_e32 v25, v25, v26
	v_add_f16_e32 v26, v11, v17
	s_waitcnt lgkmcnt(0)
	v_fma_f16 v26, v26, -0.5, v19
	v_sub_f16_e32 v39, v35, v36
	v_sub_f16_e32 v38, v28, v37
	v_fma_f16 v29, v39, s3, v26
	v_fma_f16 v26, v39, s0, v26
	;; [unrolled: 1-line block ×6, first 2 shown]
	v_lshrrev_b32_e32 v25, 16, v12
	s_waitcnt vmcnt(0)
	v_mul_f16_sdwa v26, v25, v0 dst_sel:DWORD dst_unused:UNUSED_PAD src0_sel:DWORD src1_sel:WORD_1
	v_fma_f16 v40, v12, v0, -v26
	v_mul_f16_sdwa v12, v12, v0 dst_sel:DWORD dst_unused:UNUSED_PAD src0_sel:DWORD src1_sel:WORD_1
	v_fma_f16 v12, v25, v0, v12
	v_lshrrev_b32_e32 v25, 16, v14
	v_mul_f16_sdwa v26, v25, v1 dst_sel:DWORD dst_unused:UNUSED_PAD src0_sel:DWORD src1_sel:WORD_1
	v_fma_f16 v41, v14, v1, -v26
	v_mul_f16_sdwa v14, v14, v1 dst_sel:DWORD dst_unused:UNUSED_PAD src0_sel:DWORD src1_sel:WORD_1
	v_fma_f16 v14, v25, v1, v14
	v_lshrrev_b32_e32 v25, 16, v16
	;; [unrolled: 5-line block ×3, first 2 shown]
	v_mul_f16_sdwa v26, v25, v3 dst_sel:DWORD dst_unused:UNUSED_PAD src0_sel:DWORD src1_sel:WORD_1
	v_fma_f16 v57, v18, v3, -v26
	v_mul_f16_sdwa v18, v18, v3 dst_sel:DWORD dst_unused:UNUSED_PAD src0_sel:DWORD src1_sel:WORD_1
	v_fma_f16 v18, v25, v3, v18
	v_sub_f16_e32 v25, v40, v41
	v_sub_f16_e32 v26, v57, v42
	v_add_f16_e32 v25, v25, v26
	v_sub_f16_e32 v26, v41, v40
	v_sub_f16_e32 v31, v42, v57
	v_add_f16_e32 v26, v26, v31
	v_add_f16_e32 v31, v41, v42
	v_fma_f16 v33, v31, -0.5, v20
	v_sub_f16_e32 v34, v12, v18
	v_add_f16_e32 v32, v40, v57
	v_fma_f16 v31, v34, s0, v33
	v_sub_f16_e32 v56, v14, v16
	v_fma_f16 v58, v32, -0.5, v20
	v_fma_f16 v33, v34, s3, v33
	v_fma_f16 v31, v56, s1, v31
	;; [unrolled: 1-line block ×11, first 2 shown]
	v_sub_f16_e32 v25, v11, v13
	v_sub_f16_e32 v26, v17, v15
	v_add_f16_e32 v62, v25, v26
	v_add_f16_e32 v25, v19, v11
	v_add_f16_e32 v25, v25, v13
	v_add_f16_e32 v25, v25, v15
	v_add_f16_e32 v26, v13, v15
	v_add_f16_e32 v25, v25, v17
	v_sub_f16_e32 v11, v11, v17
	v_sub_f16_e32 v13, v13, v15
	v_sub_f16_e32 v15, v28, v35
	v_sub_f16_e32 v17, v37, v36
	v_add_f16_e32 v15, v15, v17
	v_mul_u32_u24_e32 v17, 50, v21
	v_add_lshl_u32 v56, v17, v22, 2
	v_lshrrev_b32_e32 v17, 16, v19
	v_fma_f16 v61, v26, -0.5, v19
	v_add_f16_e32 v19, v17, v28
	v_add_f16_e32 v19, v19, v35
	;; [unrolled: 1-line block ×5, first 2 shown]
	v_fma_f16 v19, v19, -0.5, v17
	v_fma_f16 v26, v38, s0, v61
	v_fma_f16 v21, v11, s3, v19
	;; [unrolled: 1-line block ×6, first 2 shown]
	v_pack_b32_f16 v21, v25, v58
	v_pack_b32_f16 v22, v26, v63
	s_barrier
	ds_write2_b32 v56, v21, v22 offset1:10
	v_add_f16_e32 v21, v28, v37
	v_fma_f16 v17, v21, -0.5, v17
	v_sub_f16_e32 v21, v35, v28
	v_sub_f16_e32 v22, v36, v37
	v_add_f16_e32 v21, v21, v22
	v_fma_f16 v22, v13, s0, v17
	v_fma_f16 v17, v13, s3, v17
	;; [unrolled: 1-line block ×6, first 2 shown]
	v_pack_b32_f16 v17, v29, v59
	v_pack_b32_f16 v21, v30, v60
	ds_write2_b32 v56, v17, v21 offset0:20 offset1:30
	v_fma_f16 v17, v38, s3, v61
	v_fma_f16 v11, v11, s0, v19
	;; [unrolled: 1-line block ×5, first 2 shown]
	v_add_f16_e32 v13, v20, v40
	v_fma_f16 v35, v62, s2, v17
	v_sub_f16_e32 v17, v12, v14
	v_sub_f16_e32 v19, v18, v16
	v_add_f16_e32 v13, v13, v41
	v_add_f16_e32 v17, v17, v19
	v_pack_b32_f16 v19, v35, v61
	v_lshrrev_b32_e32 v11, 16, v20
	v_add_f16_e32 v13, v13, v42
	ds_write_b32 v56, v19 offset:160
	v_mul_u32_u24_e32 v19, 50, v23
	v_add_f16_e32 v36, v13, v57
	v_sub_f16_e32 v13, v40, v57
	v_add_lshl_u32 v57, v19, v27, 2
	v_add_f16_e32 v19, v11, v12
	v_add_f16_e32 v19, v19, v14
	;; [unrolled: 1-line block ×5, first 2 shown]
	v_fma_f16 v19, v19, -0.5, v11
	v_sub_f16_e32 v15, v41, v42
	v_fma_f16 v20, v13, s3, v19
	v_fma_f16 v20, v15, s6, v20
	;; [unrolled: 1-line block ×3, first 2 shown]
	v_pack_b32_f16 v20, v36, v62
	v_pack_b32_f16 v21, v31, v64
	ds_write2_b32 v57, v20, v21 offset1:10
	v_add_f16_e32 v20, v12, v18
	v_fma_f16 v11, v20, -0.5, v11
	v_sub_f16_e32 v12, v14, v12
	v_sub_f16_e32 v14, v16, v18
	v_add_f16_e32 v12, v12, v14
	v_fma_f16 v14, v15, s0, v11
	v_fma_f16 v11, v15, s3, v11
	;; [unrolled: 1-line block ×6, first 2 shown]
	v_pack_b32_f16 v11, v32, v65
	v_pack_b32_f16 v12, v33, v66
	ds_write2_b32 v57, v11, v12 offset0:20 offset1:30
	v_mov_b32_e32 v11, s13
	v_add_co_u32_e32 v27, vcc, s12, v44
	v_addc_co_u32_e32 v28, vcc, 0, v11, vcc
	v_fma_f16 v11, v13, s0, v19
	v_fma_f16 v11, v15, s1, v11
	;; [unrolled: 1-line block ×3, first 2 shown]
	s_load_dwordx2 s[2:3], s[4:5], 0x38
	v_pack_b32_f16 v11, v34, v67
	v_cmp_gt_u16_e32 vcc, 50, v53
	ds_write_b32 v57, v11 offset:160
	s_waitcnt lgkmcnt(0)
	s_barrier
	s_waitcnt lgkmcnt(0)
                                        ; implicit-def: $vgpr37
                                        ; implicit-def: $vgpr41
                                        ; implicit-def: $vgpr39
	s_and_saveexec_b64 s[0:1], vcc
	s_cbranch_execz .LBB0_3
; %bb.2:
	ds_read2_b32 v[25:26], v44 offset1:50
	ds_read2_b32 v[29:30], v44 offset0:100 offset1:150
	ds_read2_b32 v[35:36], v44 offset0:200 offset1:250
	;; [unrolled: 1-line block ×7, first 2 shown]
	ds_read_b32 v86, v44 offset:3200
	s_waitcnt lgkmcnt(8)
	v_lshrrev_b32_e32 v58, 16, v25
	v_lshrrev_b32_e32 v63, 16, v26
	s_waitcnt lgkmcnt(7)
	v_lshrrev_b32_e32 v59, 16, v29
	v_lshrrev_b32_e32 v60, 16, v30
	;; [unrolled: 3-line block ×8, first 2 shown]
	s_waitcnt lgkmcnt(0)
	v_lshrrev_b32_e32 v92, 16, v86
.LBB0_3:
	s_or_b64 exec, exec, s[0:1]
	v_lshlrev_b32_e32 v8, 4, v53
	s_movk_i32 s0, 0xfce0
	v_add_co_u32_e64 v10, s[0:1], s0, v8
	v_addc_co_u32_e64 v9, s[0:1], 0, -1, s[0:1]
	v_cndmask_b32_e64 v9, v9, 0, vcc
	v_cndmask_b32_e32 v8, v10, v8, vcc
	v_lshlrev_b64 v[8:9], 2, v[8:9]
	v_mov_b32_e32 v10, s15
	v_add_co_u32_e64 v72, s[0:1], s14, v8
	v_addc_co_u32_e64 v73, s[0:1], v10, v9, s[0:1]
	global_load_dwordx4 v[16:19], v[72:73], off offset:160
	global_load_dwordx4 v[8:11], v[72:73], off offset:176
	;; [unrolled: 1-line block ×4, first 2 shown]
	s_movk_i32 s4, 0x39e9
	s_movk_i32 s6, 0x2de8
	;; [unrolled: 1-line block ×3, first 2 shown]
	s_mov_b32 s7, 0xb8d2
	s_mov_b32 s14, 0xbbdd
	;; [unrolled: 1-line block ×4, first 2 shown]
	s_movk_i32 s17, 0x3b76
	s_waitcnt vmcnt(3)
	v_mul_f16_sdwa v85, v29, v17 dst_sel:DWORD dst_unused:UNUSED_PAD src0_sel:DWORD src1_sel:WORD_1
	s_waitcnt vmcnt(2)
	v_mul_f16_sdwa v90, v36, v8 dst_sel:DWORD dst_unused:UNUSED_PAD src0_sel:DWORD src1_sel:WORD_1
	v_mul_f16_sdwa v100, v26, v16 dst_sel:DWORD dst_unused:UNUSED_PAD src0_sel:DWORD src1_sel:WORD_1
	s_waitcnt vmcnt(0)
	v_mul_f16_sdwa v106, v92, v23 dst_sel:DWORD dst_unused:UNUSED_PAD src0_sel:DWORD src1_sel:WORD_1
	v_mul_f16_sdwa v107, v86, v23 dst_sel:DWORD dst_unused:UNUSED_PAD src0_sel:DWORD src1_sel:WORD_1
	;; [unrolled: 1-line block ×15, first 2 shown]
	v_fma_f16 v59, v59, v17, v85
	v_fma_f16 v62, v62, v8, v90
	;; [unrolled: 1-line block ×3, first 2 shown]
	v_fma_f16 v90, v86, v23, -v106
	v_fma_f16 v86, v92, v23, v107
	v_mul_f16_sdwa v89, v35, v19 dst_sel:DWORD dst_unused:UNUSED_PAD src0_sel:DWORD src1_sel:WORD_1
	v_mul_f16_sdwa v76, v64, v9 dst_sel:DWORD dst_unused:UNUSED_PAD src0_sel:DWORD src1_sel:WORD_1
	;; [unrolled: 1-line block ×11, first 2 shown]
	v_fma_f16 v63, v64, v9, v91
	v_fma_f16 v64, v65, v10, v93
	;; [unrolled: 1-line block ×6, first 2 shown]
	v_fma_f16 v91, v26, v16, -v101
	v_fma_f16 v69, v70, v15, v98
	v_fma_f16 v70, v71, v20, v99
	;; [unrolled: 1-line block ×4, first 2 shown]
	v_sub_f16_e32 v113, v85, v86
	v_mul_f16_sdwa v74, v61, v19 dst_sel:DWORD dst_unused:UNUSED_PAD src0_sel:DWORD src1_sel:WORD_1
	v_fma_f16 v72, v29, v17, -v72
	v_fma_f16 v61, v61, v19, v89
	v_fma_f16 v89, v40, v22, -v104
	v_add_f16_e32 v26, v91, v90
	v_sub_f16_e32 v114, v59, v84
	v_mul_f16_e32 v94, 0xb964, v113
	v_mul_f16_sdwa v73, v60, v18 dst_sel:DWORD dst_unused:UNUSED_PAD src0_sel:DWORD src1_sel:WORD_1
	v_mul_f16_sdwa v88, v30, v18 dst_sel:DWORD dst_unused:UNUSED_PAD src0_sel:DWORD src1_sel:WORD_1
	v_add_f16_e32 v87, v72, v89
	v_mul_f16_e32 v95, 0xbbf7, v114
	v_fma_f16 v29, v26, s4, v94
	v_fma_f16 v73, v30, v18, -v73
	v_fma_f16 v60, v60, v18, v88
	v_fma_f16 v30, v87, s6, v95
	v_add_f16_e32 v29, v25, v29
	v_mul_f16_e32 v97, 0xbb29, v113
	v_fma_f16 v88, v39, v21, -v102
	v_add_f16_e32 v29, v30, v29
	v_fma_f16 v30, v26, s5, v97
	v_mul_f16_e32 v98, 0xba62, v114
	v_sub_f16_e32 v118, v60, v71
	v_fma_f16 v76, v31, v9, -v76
	v_add_f16_e32 v30, v25, v30
	v_fma_f16 v31, v87, s7, v98
	v_add_f16_e32 v92, v73, v88
	v_mul_f16_e32 v99, 0xba62, v118
	v_fma_f16 v74, v35, v19, -v74
	v_fma_f16 v83, v42, v20, -v83
	v_add_f16_e32 v30, v31, v30
	v_fma_f16 v31, v92, s7, v99
	v_mul_f16_e32 v253, 0x31e1, v118
	v_sub_f16_e32 v135, v61, v70
	v_add_f16_e32 v29, v31, v29
	v_fma_f16 v31, v92, s14, v253
	v_add_f16_e32 v93, v74, v83
	v_mul_f16_e32 v102, 0xb1e1, v135
	v_fma_f16 v75, v36, v8, -v75
	v_fma_f16 v82, v41, v15, -v82
	v_add_f16_e32 v30, v31, v30
	v_fma_f16 v31, v93, s14, v102
	v_mul_f16_e32 v104, 0x3bb2, v135
	v_sub_f16_e32 v148, v62, v69
	v_add_f16_e32 v29, v31, v29
	v_fma_f16 v31, v93, s15, v104
	v_add_f16_e32 v96, v75, v82
	v_mul_f16_e32 v105, 0x3836, v148
	v_fma_f16 v81, v38, v14, -v81
	v_add_f16_e32 v30, v31, v30
	v_fma_f16 v31, v96, s16, v105
	v_mul_f16_e32 v107, 0x3964, v148
	v_sub_f16_e32 v156, v63, v68
	v_add_f16_e32 v29, v31, v29
	v_fma_f16 v31, v96, s4, v107
	v_add_f16_e32 v100, v76, v81
	v_mul_f16_e32 v108, 0x3bb2, v156
	v_fma_f16 v77, v32, v10, -v77
	v_fma_f16 v80, v37, v13, -v80
	v_add_f16_e32 v30, v31, v30
	v_fma_f16 v31, v100, s15, v108
	v_mul_f16_e32 v109, 0xb5c8, v156
	v_sub_f16_e32 v175, v64, v67
	v_add_f16_e32 v29, v31, v29
	v_fma_f16 v31, v100, s17, v109
	v_add_f16_e32 v103, v77, v80
	v_mul_f16_e32 v110, 0x3b29, v175
	v_fma_f16 v78, v33, v11, -v78
	v_fma_f16 v79, v34, v12, -v79
	v_add_f16_e32 v30, v31, v30
	v_fma_f16 v31, v103, s5, v110
	v_mul_f16_e32 v111, 0xbbf7, v175
	v_sub_f16_e32 v187, v65, v66
	v_add_f16_e32 v29, v31, v29
	v_fma_f16 v31, v103, s6, v111
	v_add_f16_e32 v106, v78, v79
	v_mul_f16_e32 v112, 0x35c8, v187
	v_add_f16_e32 v31, v31, v30
	v_fma_f16 v30, v106, s17, v112
	v_mul_f16_e32 v115, 0xb836, v187
	v_add_f16_e32 v30, v30, v29
	v_fma_f16 v29, v106, s16, v115
	v_mul_f16_e32 v119, 0xbbf7, v113
	v_add_f16_e32 v29, v29, v31
	v_fma_f16 v31, v26, s6, v119
	v_mul_f16_e32 v120, 0xb1e1, v114
	v_add_f16_e32 v31, v25, v31
	v_fma_f16 v32, v87, s14, v120
	v_mul_f16_e32 v131, 0xbbb2, v113
	v_add_f16_e32 v31, v32, v31
	v_fma_f16 v32, v26, s15, v131
	v_mul_f16_e32 v133, 0x3836, v114
	v_add_f16_e32 v32, v25, v32
	v_fma_f16 v33, v87, s16, v133
	v_mul_f16_e32 v121, 0x3bb2, v118
	v_add_f16_e32 v32, v33, v32
	v_fma_f16 v33, v92, s15, v121
	v_mul_f16_e32 v136, 0x3964, v118
	v_add_f16_e32 v31, v33, v31
	v_fma_f16 v33, v92, s4, v136
	v_mul_f16_e32 v123, 0x35c8, v135
	v_add_f16_e32 v32, v33, v32
	v_fma_f16 v33, v93, s17, v123
	v_mul_f16_e32 v137, 0xbb29, v135
	v_add_f16_e32 v31, v33, v31
	v_fma_f16 v33, v93, s5, v137
	v_mul_f16_e32 v126, 0xbb29, v148
	v_add_f16_e32 v32, v33, v32
	v_fma_f16 v33, v96, s5, v126
	v_mul_f16_e32 v138, 0xb1e1, v148
	v_add_f16_e32 v31, v33, v31
	v_fma_f16 v33, v96, s14, v138
	v_mul_f16_e32 v127, 0xb836, v156
	v_add_f16_e32 v32, v33, v32
	v_fma_f16 v33, v100, s16, v127
	v_mul_f16_e32 v139, 0x3bf7, v156
	v_add_f16_e32 v31, v33, v31
	v_fma_f16 v33, v100, s6, v139
	v_mul_f16_e32 v128, 0x3a62, v175
	v_add_f16_e32 v32, v33, v32
	v_fma_f16 v33, v103, s7, v128
	v_mul_f16_e32 v140, 0xb5c8, v175
	v_add_f16_e32 v31, v33, v31
	v_fma_f16 v33, v103, s17, v140
	v_mul_f16_e32 v129, 0x3964, v187
	v_add_f16_e32 v33, v33, v32
	v_fma_f16 v32, v106, s4, v129
	v_mul_f16_e32 v143, 0xba62, v187
	v_add_f16_e32 v32, v32, v31
	v_fma_f16 v31, v106, s7, v143
	v_mul_f16_e32 v162, 0xba62, v113
	v_add_f16_e32 v31, v31, v33
	v_fma_f16 v33, v26, s7, v162
	v_mul_f16_e32 v161, 0x3bb2, v114
	v_add_f16_e32 v33, v25, v33
	v_fma_f16 v34, v87, s15, v161
	v_mul_f16_e32 v197, 0xb836, v113
	v_add_f16_e32 v33, v34, v33
	v_fma_f16 v34, v26, s16, v197
	v_mul_f16_e32 v195, 0x3b29, v114
	v_add_f16_e32 v34, v25, v34
	v_fma_f16 v35, v87, s5, v195
	v_mul_f16_e32 v163, 0xb5c8, v118
	v_add_f16_e32 v34, v35, v34
	v_fma_f16 v35, v92, s17, v163
	v_mul_f16_e32 v192, 0xbbf7, v118
	v_add_f16_e32 v33, v35, v33
	v_fma_f16 v35, v92, s6, v192
	v_mul_f16_e32 v164, 0xb836, v135
	v_add_f16_e32 v34, v35, v34
	v_fma_f16 v35, v93, s16, v164
	v_mul_f16_e32 v193, 0x3a62, v135
	v_add_f16_e32 v33, v35, v33
	v_fma_f16 v35, v93, s7, v193
	v_mul_f16_e32 v165, 0x3bf7, v148
	v_add_f16_e32 v34, v35, v34
	v_fma_f16 v35, v96, s6, v165
	v_mul_f16_e32 v194, 0xb5c8, v148
	v_add_f16_e32 v33, v35, v33
	v_fma_f16 v35, v96, s17, v194
	v_mul_f16_e32 v166, 0xb964, v156
	v_add_f16_e32 v34, v35, v34
	v_fma_f16 v35, v100, s4, v166
	v_mul_f16_e32 v196, 0xb1e1, v156
	v_add_f16_e32 v33, v35, v33
	v_fma_f16 v35, v100, s14, v196
	v_mul_f16_e32 v167, 0xb1e1, v175
	v_add_f16_e32 v34, v35, v34
	v_fma_f16 v35, v103, s14, v167
	v_mul_f16_e32 v198, 0x3964, v175
	v_add_f16_e32 v33, v35, v33
	v_fma_f16 v35, v103, s4, v198
	v_mul_f16_e32 v172, 0x3b29, v187
	v_add_f16_e32 v35, v35, v34
	v_fma_f16 v34, v106, s5, v172
	v_mul_f16_e32 v201, 0xbbb2, v187
	v_add_f16_e32 v34, v34, v33
	v_fma_f16 v33, v106, s15, v201
	v_mul_f16_e32 v122, 0xb5c8, v113
	v_add_f16_e32 v33, v33, v35
	v_fma_f16 v35, v26, s17, v122
	v_mul_f16_e32 v124, 0xb964, v114
	v_sub_f16_e32 v219, v91, v90
	v_add_f16_e32 v35, v25, v35
	v_fma_f16 v36, v87, s4, v124
	v_add_f16_e32 v116, v85, v86
	v_mul_f16_e32 v130, 0xb5c8, v219
	v_sub_f16_e32 v220, v72, v89
	v_add_f16_e32 v35, v36, v35
	v_fma_f16 v36, v116, s17, -v130
	v_add_f16_e32 v117, v59, v84
	v_mul_f16_e32 v132, 0xb964, v220
	v_add_f16_e32 v36, v58, v36
	v_fma_f16 v37, v117, s4, -v132
	v_mul_f16_e32 v144, 0xb964, v219
	v_add_f16_e32 v36, v37, v36
	v_fma_f16 v37, v116, s4, -v144
	;; [unrolled: 3-line block ×13, first 2 shown]
	v_mul_f16_e32 v141, 0xbb29, v118
	v_add_f16_e32 v42, v125, v42
	v_fma_f16 v125, v92, s5, v141
	v_sub_f16_e32 v224, v73, v88
	v_add_f16_e32 v35, v125, v35
	v_add_f16_e32 v125, v60, v71
	v_mul_f16_e32 v146, 0xbb29, v224
	v_fma_f16 v134, v125, s5, -v146
	v_mul_f16_e32 v155, 0xba62, v224
	v_add_f16_e32 v36, v134, v36
	v_fma_f16 v134, v125, s7, -v155
	v_mul_f16_e32 v168, 0x31e1, v224
	v_add_f16_e32 v37, v134, v37
	v_fma_f16 v134, v125, s14, -v168
	v_mul_f16_e32 v179, 0x3bb2, v224
	v_add_f16_e32 v38, v134, v38
	v_fma_f16 v134, v125, s15, -v179
	v_mul_f16_e32 v188, 0x3964, v224
	v_add_f16_e32 v39, v134, v39
	v_fma_f16 v134, v125, s4, -v188
	v_mul_f16_e32 v210, 0xb5c8, v224
	v_add_f16_e32 v40, v134, v40
	v_fma_f16 v134, v125, s17, -v210
	v_mul_f16_e32 v221, 0xbbf7, v224
	v_add_f16_e32 v41, v134, v41
	v_fma_f16 v134, v125, s6, -v221
	v_mul_f16_e32 v147, 0xbbf7, v135
	v_add_f16_e32 v42, v134, v42
	v_fma_f16 v134, v93, s6, v147
	v_sub_f16_e32 v226, v74, v83
	v_add_f16_e32 v35, v134, v35
	v_add_f16_e32 v134, v61, v70
	v_mul_f16_e32 v150, 0xbbf7, v226
	v_fma_f16 v142, v134, s6, -v150
	v_mul_f16_e32 v160, 0xb1e1, v226
	v_add_f16_e32 v36, v142, v36
	v_fma_f16 v142, v134, s14, -v160
	v_mul_f16_e32 v176, 0x3bb2, v226
	v_add_f16_e32 v37, v142, v37
	v_fma_f16 v142, v134, s15, -v176
	v_mul_f16_e32 v185, 0x35c8, v226
	v_add_f16_e32 v38, v142, v38
	v_fma_f16 v142, v134, s17, -v185
	v_mul_f16_e32 v199, 0xbb29, v226
	v_add_f16_e32 v39, v142, v39
	v_fma_f16 v142, v134, s5, -v199
	v_mul_f16_e32 v212, 0xb836, v226
	v_add_f16_e32 v40, v142, v40
	v_fma_f16 v142, v134, s16, -v212
	v_mul_f16_e32 v223, 0x3a62, v226
	v_add_f16_e32 v41, v142, v41
	v_fma_f16 v142, v134, s7, -v223
	;; [unrolled: 26-line block ×5, first 2 shown]
	v_mul_f16_e32 v178, 0xb1e1, v187
	v_sub_f16_e32 v233, v78, v79
	v_add_f16_e32 v234, v39, v42
	v_fma_f16 v39, v106, s14, v178
	v_add_f16_e32 v159, v65, v66
	v_mul_f16_e32 v184, 0xb1e1, v233
	v_add_f16_e32 v41, v39, v35
	v_fma_f16 v35, v159, s14, -v184
	v_mul_f16_e32 v191, 0x35c8, v233
	v_add_f16_e32 v42, v35, v36
	v_fma_f16 v35, v159, s17, -v191
	;; [unrolled: 3-line block ×4, first 2 shown]
	v_add_f16_e32 v38, v35, v213
	v_mul_f16_e32 v213, 0xba62, v233
	v_fma_f16 v35, v159, s7, -v213
	v_add_f16_e32 v37, v35, v222
	v_mul_f16_e32 v222, 0x3b29, v233
	v_fma_f16 v35, v159, s5, -v222
	v_add_f16_e32 v36, v35, v230
	v_mul_f16_e32 v230, 0xbbb2, v233
	v_fma_f16 v35, v159, s15, -v230
	v_add_f16_e32 v35, v35, v234
	s_and_saveexec_b64 s[0:1], vcc
	s_cbranch_execz .LBB0_5
; %bb.4:
	v_mul_f16_e32 v247, 0xbacd, v116
	v_mul_f16_e32 v242, 0xb461, v26
	v_mul_f16_e32 v246, 0xbacd, v26
	v_mul_f16_e32 v250, 0x3722, v117
	v_add_f16_e32 v217, v217, v247
	buffer_store_dword v94, off, s[36:39], 0 offset:4 ; 4-byte Folded Spill
	v_mul_f16_e32 v94, 0xbacd, v87
	v_mul_f16_e32 v236, 0x3722, v87
	;; [unrolled: 1-line block ×3, first 2 shown]
	v_add_f16_e32 v216, v216, v250
	v_add_f16_e32 v217, v58, v217
	v_sub_f16_e32 v197, v246, v197
	v_sub_f16_e32 v131, v242, v131
	v_mul_f16_e32 v244, 0xb8d2, v26
	v_mul_f16_e32 v237, 0x39e9, v92
	buffer_store_dword v99, off, s[36:39], 0 offset:12 ; 4-byte Folded Spill
	v_mul_f16_e32 v99, 0x2de8, v92
	v_add_f16_e32 v216, v216, v217
	v_add_f16_e32 v101, v221, v101
	v_sub_f16_e32 v195, v236, v195
	v_add_f16_e32 v197, v25, v197
	v_add_f16_e32 v131, v25, v131
	v_sub_f16_e32 v94, v94, v133
	v_mul_f16_e32 v235, 0xb461, v87
	v_mul_f16_e32 v219, 0xb1e1, v219
	;; [unrolled: 1-line block ×3, first 2 shown]
	v_add_f16_e32 v101, v101, v216
	v_mul_f16_e32 v216, 0xb8d2, v134
	v_add_f16_e32 v195, v195, v197
	v_sub_f16_e32 v99, v99, v192
	v_sub_f16_e32 v162, v244, v162
	v_add_f16_e32 v94, v94, v131
	v_sub_f16_e32 v131, v237, v136
	v_mul_f16_e32 v239, 0x3b76, v92
	v_fma_f16 v240, v116, s14, v219
	v_mul_f16_e32 v220, 0x35c8, v220
	v_add_f16_e32 v216, v223, v216
	v_mul_f16_e32 v223, 0xbacd, v134
	v_add_f16_e32 v99, v99, v195
	v_mul_f16_e32 v195, 0xbbdd, v96
	v_sub_f16_e32 v161, v235, v161
	v_add_f16_e32 v162, v25, v162
	v_add_f16_e32 v94, v131, v94
	v_sub_f16_e32 v131, v250, v137
	v_add_f16_e32 v240, v58, v240
	v_fma_f16 v234, v117, s17, v220
	v_mul_f16_e32 v224, 0xb836, v224
	v_add_f16_e32 v212, v212, v223
	v_mul_f16_e32 v223, 0x2de8, v100
	v_add_f16_e32 v161, v161, v162
	v_sub_f16_e32 v163, v239, v163
	v_add_f16_e32 v94, v131, v94
	v_sub_f16_e32 v131, v195, v138
	v_mul_f16_e32 v248, 0xbacd, v117
	v_add_f16_e32 v234, v234, v240
	v_fma_f16 v240, v125, s16, v224
	v_mul_f16_e32 v226, 0x3964, v226
	v_add_f16_e32 v161, v163, v161
	v_mul_f16_e32 v163, 0x3b76, v103
	v_add_f16_e32 v94, v131, v94
	v_sub_f16_e32 v131, v223, v139
	v_add_f16_e32 v234, v240, v234
	v_fma_f16 v240, v134, s4, v226
	v_mul_f16_e32 v228, 0xba62, v228
	v_add_f16_e32 v182, v182, v248
	v_mul_f16_e32 v248, 0xb8d2, v106
	v_add_f16_e32 v94, v131, v94
	v_sub_f16_e32 v131, v163, v140
	v_mul_f16_e32 v241, 0x2de8, v116
	v_add_f16_e32 v234, v240, v234
	v_fma_f16 v240, v142, s7, v228
	v_mul_f16_e32 v231, 0x3b29, v231
	v_add_f16_e32 v94, v131, v94
	v_sub_f16_e32 v131, v248, v143
	v_mul_f16_e32 v245, 0xb8d2, v116
	v_mul_f16_e32 v255, 0xbbdd, v117
	v_add_f16_e32 v234, v240, v234
	v_fma_f16 v240, v149, s5, v231
	v_mul_f16_e32 v232, 0xbbb2, v232
	v_add_f16_e32 v94, v131, v94
	v_add_f16_e32 v131, v169, v241
	v_mul_f16_e32 v249, 0xb461, v117
	buffer_store_dword v97, off, s[36:39], 0 offset:16 ; 4-byte Folded Spill
	v_mul_f16_e32 v97, 0xb461, v125
	v_add_f16_e32 v234, v240, v234
	v_fma_f16 v240, v152, s15, v232
	v_mul_f16_e32 v233, 0x3bf7, v233
	v_add_f16_e32 v207, v207, v245
	v_add_f16_e32 v131, v58, v131
	;; [unrolled: 1-line block ×3, first 2 shown]
	buffer_store_dword v98, off, s[36:39], 0 offset:20 ; 4-byte Folded Spill
	v_mul_f16_e32 v98, 0x3b76, v125
	v_add_f16_e32 v234, v240, v234
	v_fma_f16 v240, v159, s6, v233
	v_mul_f16_e32 v113, 0xb1e1, v113
	v_mul_f16_e32 v247, 0x3b76, v134
	v_add_f16_e32 v206, v206, v249
	v_add_f16_e32 v207, v58, v207
	;; [unrolled: 1-line block ×5, first 2 shown]
	v_fma_f16 v240, v26, s14, -v113
	v_mul_f16_e32 v114, 0x35c8, v114
	v_add_f16_e32 v101, v216, v101
	v_mul_f16_e32 v216, 0x3b76, v142
	v_mul_f16_e32 v192, 0x3722, v142
	v_add_f16_e32 v206, v206, v207
	v_add_f16_e32 v98, v210, v98
	;; [unrolled: 1-line block ×4, first 2 shown]
	buffer_store_dword v234, off, s[36:39], 0 ; 4-byte Folded Spill
	v_add_f16_e32 v240, v25, v240
	v_fma_f16 v234, v87, s17, -v114
	v_mul_f16_e32 v118, 0xb836, v118
	v_add_f16_e32 v216, v225, v216
	v_mul_f16_e32 v225, 0xb8d2, v93
	v_add_f16_e32 v98, v98, v206
	;; [unrolled: 2-line block ×3, first 2 shown]
	v_add_f16_e32 v131, v190, v192
	v_mul_f16_e32 v243, 0xb461, v116
	v_add_f16_e32 v234, v234, v240
	v_fma_f16 v240, v92, s16, -v118
	v_mul_f16_e32 v135, 0x3964, v135
	v_sub_f16_e32 v193, v225, v193
	v_mul_f16_e32 v239, 0xb8d2, v152
	v_add_f16_e32 v97, v131, v97
	v_add_f16_e32 v131, v202, v206
	;; [unrolled: 1-line block ×3, first 2 shown]
	v_fma_f16 v240, v93, s4, -v135
	v_mul_f16_e32 v148, 0xba62, v148
	v_add_f16_e32 v99, v193, v99
	v_mul_f16_e32 v193, 0x3b76, v96
	v_add_f16_e32 v181, v181, v243
	;; [unrolled: 2-line block ×3, first 2 shown]
	v_add_f16_e32 v131, v205, v239
	v_add_f16_e32 v234, v240, v234
	v_fma_f16 v240, v96, s7, -v148
	v_mul_f16_e32 v156, 0x3b29, v156
	v_sub_f16_e32 v193, v193, v194
	v_add_f16_e32 v97, v131, v97
	v_add_f16_e32 v131, v209, v243
	;; [unrolled: 1-line block ×3, first 2 shown]
	v_fma_f16 v240, v100, s5, -v156
	v_mul_f16_e32 v175, 0xbbb2, v175
	v_mul_f16_e32 v221, 0xbacd, v93
	v_add_f16_e32 v99, v193, v99
	v_mul_f16_e32 v193, 0xbbdd, v100
	v_add_f16_e32 v97, v131, v97
	v_mul_f16_e32 v131, 0x2de8, v26
	v_mul_f16_e32 v254, 0xbbdd, v87
	v_add_f16_e32 v234, v240, v234
	v_fma_f16 v240, v103, s15, -v175
	v_mul_f16_e32 v187, 0x3bf7, v187
	v_mul_f16_e32 v194, 0x2de8, v96
	v_sub_f16_e32 v193, v193, v196
	v_mul_f16_e32 v196, 0x2de8, v142
	v_sub_f16_e32 v164, v221, v164
	v_sub_f16_e32 v119, v131, v119
	v_mul_f16_e32 v238, 0xb461, v92
	v_add_f16_e32 v234, v240, v234
	v_fma_f16 v240, v106, s6, -v187
	v_add_f16_e32 v196, v214, v196
	v_mul_f16_e32 v214, 0x39e9, v100
	v_add_f16_e32 v161, v164, v161
	v_sub_f16_e32 v165, v194, v165
	v_add_f16_e32 v119, v25, v119
	v_sub_f16_e32 v120, v254, v120
	v_add_f16_e32 v234, v240, v234
	v_mul_f16_e32 v240, 0x3b76, v93
	v_mul_f16_e32 v164, 0xbbdd, v103
	v_add_f16_e32 v161, v165, v161
	v_sub_f16_e32 v166, v214, v166
	v_add_f16_e32 v119, v120, v119
	v_sub_f16_e32 v120, v238, v121
	v_mul_f16_e32 v197, 0x3722, v96
	v_add_f16_e32 v161, v166, v161
	v_sub_f16_e32 v164, v164, v167
	v_add_f16_e32 v119, v120, v119
	v_sub_f16_e32 v120, v240, v123
	v_mul_f16_e32 v210, 0xbacd, v100
	v_add_f16_e32 v161, v164, v161
	v_mul_f16_e32 v164, 0x3722, v106
	v_add_f16_e32 v119, v120, v119
	v_sub_f16_e32 v120, v197, v126
	v_mul_f16_e32 v162, 0xb8d2, v103
	v_sub_f16_e32 v164, v164, v172
	v_add_f16_e32 v119, v120, v119
	v_sub_f16_e32 v120, v210, v127
	v_add_f16_e32 v161, v164, v161
	v_mul_f16_e32 v164, 0x39e9, v106
	v_add_f16_e32 v119, v120, v119
	v_sub_f16_e32 v120, v162, v128
	v_add_f16_e32 v119, v120, v119
	v_sub_f16_e32 v120, v164, v129
	v_add_f16_e32 v119, v120, v119
	v_mul_f16_e32 v120, 0x3722, v116
	v_add_f16_e32 v120, v153, v120
	v_mul_f16_e32 v121, 0xb8d2, v117
	v_add_f16_e32 v120, v58, v120
	v_add_f16_e32 v121, v154, v121
	;; [unrolled: 1-line block ×3, first 2 shown]
	buffer_load_dword v121, off, s[36:39], 0 offset:16 ; 4-byte Folded Reload
	buffer_load_dword v123, off, s[36:39], 0 offset:20 ; 4-byte Folded Reload
	v_mul_f16_e32 v251, 0xb461, v134
	buffer_store_dword v95, off, s[36:39], 0 offset:8 ; 4-byte Folded Spill
	v_mul_f16_e32 v95, 0xbbdd, v125
	v_add_f16_e32 v95, v168, v95
	v_mul_f16_e32 v236, 0x39e9, v142
	v_add_f16_e32 v95, v95, v120
	v_add_f16_e32 v120, v176, v251
	v_mul_f16_e32 v207, 0x3b76, v149
	v_add_f16_e32 v95, v120, v95
	;; [unrolled: 3-line block ×4, first 2 shown]
	v_add_f16_e32 v120, v200, v235
	v_add_f16_e32 v95, v120, v95
	;; [unrolled: 1-line block ×4, first 2 shown]
	v_mul_f16_e32 v120, 0x3722, v26
	v_mul_f16_e32 v246, 0x39e9, v96
	;; [unrolled: 1-line block ×3, first 2 shown]
	v_sub_f16_e32 v107, v246, v107
	v_mul_f16_e32 v244, 0x2de8, v103
	v_mul_f16_e32 v167, 0xbacd, v106
	v_add_f16_e32 v101, v216, v101
	v_mul_f16_e32 v216, 0xbbdd, v149
	v_add_f16_e32 v216, v227, v216
	v_add_f16_e32 v98, v212, v98
	v_add_f16_e32 v101, v216, v101
	v_mul_f16_e32 v216, 0x39e9, v152
	v_add_f16_e32 v98, v196, v98
	v_mul_f16_e32 v196, 0x39e9, v149
	v_add_f16_e32 v216, v229, v216
	v_add_f16_e32 v196, v215, v196
	v_add_f16_e32 v101, v216, v101
	;; [unrolled: 6-line block ×3, first 2 shown]
	v_mul_f16_e32 v216, 0xbacd, v142
	v_add_f16_e32 v98, v196, v98
	v_mul_f16_e32 v196, 0x3722, v159
	v_mul_f16_e32 v245, 0xb461, v149
	v_add_f16_e32 v196, v222, v196
	v_add_f16_e32 v98, v196, v98
	v_mul_f16_e32 v196, 0x3722, v152
	v_mul_f16_e32 v166, 0x3b76, v159
	v_add_f16_e32 v99, v193, v99
	v_mul_f16_e32 v193, 0x39e9, v103
	v_sub_f16_e32 v193, v193, v198
	v_add_f16_e32 v99, v193, v99
	v_mul_f16_e32 v193, 0xb461, v106
	v_mul_f16_e32 v230, 0xbacd, v96
	v_sub_f16_e32 v193, v193, v201
	v_add_f16_e32 v99, v193, v99
	v_mul_f16_e32 v193, 0xb461, v100
	v_sub_f16_e32 v105, v230, v105
	v_mul_f16_e32 v222, 0x3722, v103
	v_mul_f16_e32 v214, 0x3b76, v106
	v_add_f16_e32 v91, v25, v91
	v_mul_f16_e32 v229, 0xb461, v142
	v_add_f16_e32 v72, v91, v72
	;; [unrolled: 2-line block ×3, first 2 shown]
	v_add_f16_e32 v73, v58, v85
	v_mul_f16_e32 v218, 0xbacd, v152
	v_add_f16_e32 v59, v73, v59
	v_mul_f16_e32 v165, 0xbbdd, v159
	v_add_f16_e32 v59, v59, v60
	v_add_f16_e32 v72, v72, v74
	v_add_f16_e32 v59, v59, v61
	v_add_f16_e32 v72, v72, v75
	v_add_f16_e32 v59, v59, v62
	v_add_f16_e32 v72, v72, v76
	v_add_f16_e32 v59, v59, v63
	s_waitcnt vmcnt(2)
	v_sub_f16_e32 v120, v120, v121
	v_mul_f16_e32 v121, 0xb8d2, v87
	v_add_f16_e32 v120, v25, v120
	s_waitcnt vmcnt(1)
	v_sub_f16_e32 v121, v121, v123
	v_add_f16_e32 v120, v121, v120
	v_mul_f16_e32 v121, 0xbbdd, v92
	v_sub_f16_e32 v121, v121, v253
	v_add_f16_e32 v120, v121, v120
	v_mul_f16_e32 v121, 0xb461, v93
	v_sub_f16_e32 v104, v121, v104
	v_add_f16_e32 v104, v104, v120
	v_add_f16_e32 v104, v107, v104
	v_sub_f16_e32 v107, v249, v109
	v_add_f16_e32 v104, v107, v104
	v_sub_f16_e32 v107, v244, v111
	buffer_load_dword v111, off, s[36:39], 0 offset:4 ; 4-byte Folded Reload
	v_add_f16_e32 v104, v107, v104
	v_sub_f16_e32 v107, v167, v115
	buffer_load_dword v115, off, s[36:39], 0 offset:8 ; 4-byte Folded Reload
	v_add_f16_e32 v104, v107, v104
	v_mul_f16_e32 v107, 0x39e9, v116
	v_add_f16_e32 v107, v144, v107
	v_mul_f16_e32 v109, 0x2de8, v117
	v_add_f16_e32 v107, v58, v107
	v_add_f16_e32 v109, v145, v109
	;; [unrolled: 1-line block ×3, first 2 shown]
	v_mul_f16_e32 v109, 0xb8d2, v125
	v_add_f16_e32 v109, v155, v109
	v_add_f16_e32 v107, v109, v107
	v_mul_f16_e32 v109, 0xbbdd, v134
	v_add_f16_e32 v109, v160, v109
	v_add_f16_e32 v107, v109, v107
	;; [unrolled: 1-line block ×10, first 2 shown]
	v_mul_f16_e32 v109, 0x39e9, v26
	v_add_f16_e32 v72, v72, v77
	v_add_f16_e32 v59, v59, v64
	;; [unrolled: 1-line block ×8, first 2 shown]
	v_mul_f16_e32 v252, 0x39e9, v125
	v_mul_f16_e32 v227, 0xb461, v96
	v_add_f16_e32 v181, v58, v181
	v_add_f16_e32 v72, v72, v81
	;; [unrolled: 1-line block ×3, first 2 shown]
	v_mul_f16_e32 v217, 0x3722, v134
	v_mul_f16_e32 v198, 0xb8d2, v100
	v_add_f16_e32 v181, v182, v181
	v_add_f16_e32 v188, v188, v252
	;; [unrolled: 1-line block ×4, first 2 shown]
	v_fma_f16 v60, v116, s14, -v219
	v_mul_f16_e32 v225, 0xbbdd, v142
	v_mul_f16_e32 v215, 0xbacd, v103
	v_add_f16_e32 v181, v188, v181
	v_add_f16_e32 v188, v199, v217
	;; [unrolled: 1-line block ×4, first 2 shown]
	v_mul_f16_e32 v212, 0x2de8, v149
	v_mul_f16_e32 v194, 0xbbdd, v106
	v_add_f16_e32 v181, v188, v181
	v_add_f16_e32 v188, v203, v225
	v_add_f16_e32 v72, v72, v88
	v_add_f16_e32 v59, v59, v71
	v_mul_f16_e32 v221, 0x3b76, v152
	v_add_f16_e32 v181, v188, v181
	v_add_f16_e32 v188, v208, v212
	v_add_f16_e32 v72, v72, v89
	v_add_f16_e32 v59, v59, v84
	;; [unrolled: 5-line block ×3, first 2 shown]
	v_add_f16_e32 v181, v188, v181
	v_add_f16_e32 v182, v213, v182
	;; [unrolled: 1-line block ×3, first 2 shown]
	s_waitcnt vmcnt(1)
	v_sub_f16_e32 v109, v109, v111
	v_mul_f16_e32 v111, 0x2de8, v87
	v_add_f16_e32 v109, v25, v109
	s_waitcnt vmcnt(0)
	v_sub_f16_e32 v111, v111, v115
	buffer_load_dword v115, off, s[36:39], 0 offset:12 ; 4-byte Folded Reload
	v_add_f16_e32 v109, v111, v109
	v_mul_f16_e32 v111, 0xb8d2, v92
	s_waitcnt vmcnt(0)
	v_sub_f16_e32 v111, v111, v115
	v_add_f16_e32 v109, v111, v109
	v_mul_f16_e32 v111, 0xbbdd, v93
	v_sub_f16_e32 v102, v111, v102
	v_add_f16_e32 v102, v102, v109
	v_add_f16_e32 v102, v105, v102
	v_sub_f16_e32 v105, v193, v108
	v_add_f16_e32 v102, v105, v102
	v_sub_f16_e32 v105, v222, v110
	;; [unrolled: 2-line block ×3, first 2 shown]
	v_add_f16_e32 v102, v105, v102
	v_mul_f16_e32 v105, 0x3b76, v116
	v_add_f16_e32 v105, v130, v105
	v_mul_f16_e32 v108, 0x39e9, v117
	v_add_f16_e32 v105, v58, v105
	v_add_f16_e32 v108, v132, v108
	;; [unrolled: 1-line block ×3, first 2 shown]
	v_mul_f16_e32 v108, 0x3722, v125
	v_add_f16_e32 v108, v146, v108
	v_add_f16_e32 v105, v108, v105
	v_mul_f16_e32 v108, 0x2de8, v134
	v_add_f16_e32 v108, v150, v108
	v_add_f16_e32 v105, v108, v105
	;; [unrolled: 1-line block ×10, first 2 shown]
	v_mul_f16_e32 v108, 0x3b76, v26
	v_sub_f16_e32 v108, v108, v122
	v_mul_f16_e32 v109, 0x39e9, v87
	v_add_f16_e32 v108, v25, v108
	v_sub_f16_e32 v109, v109, v124
	v_add_f16_e32 v108, v109, v108
	v_mul_f16_e32 v109, 0x3722, v92
	v_sub_f16_e32 v109, v109, v141
	v_fma_f16 v26, v26, s14, v113
	v_add_f16_e32 v108, v109, v108
	v_mul_f16_e32 v109, 0x2de8, v93
	v_add_f16_e32 v25, v25, v26
	v_fma_f16 v26, v87, s17, v114
	v_sub_f16_e32 v109, v109, v147
	v_add_f16_e32 v25, v26, v25
	v_fma_f16 v26, v92, s16, v118
	v_add_f16_e32 v108, v109, v108
	v_sub_f16_e32 v109, v227, v151
	v_add_f16_e32 v25, v26, v25
	v_fma_f16 v26, v93, s4, v135
	v_add_f16_e32 v108, v109, v108
	v_sub_f16_e32 v109, v198, v158
	v_add_f16_e32 v58, v58, v60
	v_fma_f16 v60, v117, s17, -v220
	v_add_f16_e32 v25, v26, v25
	v_fma_f16 v26, v96, s7, v148
	v_add_f16_e32 v108, v109, v108
	v_sub_f16_e32 v109, v215, v173
	v_add_f16_e32 v58, v60, v58
	v_fma_f16 v60, v125, s16, -v224
	;; [unrolled: 6-line block ×3, first 2 shown]
	v_add_f16_e32 v25, v26, v25
	v_fma_f16 v26, v103, s15, v175
	v_add_f16_e32 v108, v109, v108
	v_add_f16_e32 v58, v60, v58
	v_fma_f16 v60, v142, s7, -v228
	v_add_f16_e32 v25, v26, v25
	v_fma_f16 v26, v106, s6, v187
	v_add_f16_e32 v58, v60, v58
	v_fma_f16 v60, v149, s5, -v231
	v_add_f16_e32 v25, v26, v25
	v_pack_b32_f16 v26, v72, v59
	v_pack_b32_f16 v59, v108, v105
	v_add_f16_e32 v58, v60, v58
	v_fma_f16 v60, v152, s15, -v232
	ds_write2_b32 v44, v26, v59 offset1:50
	v_pack_b32_f16 v26, v102, v107
	v_pack_b32_f16 v59, v104, v95
	v_add_f16_e32 v58, v60, v58
	v_fma_f16 v60, v159, s6, -v233
	ds_write2_b32 v44, v26, v59 offset0:100 offset1:150
	v_pack_b32_f16 v26, v119, v97
	v_pack_b32_f16 v59, v94, v181
	v_add_f16_e32 v58, v60, v58
	ds_write2_b32 v44, v26, v59 offset0:200 offset1:250
	v_pack_b32_f16 v26, v161, v98
	v_pack_b32_f16 v59, v99, v101
	v_add_u32_e32 v60, 0x400, v44
	ds_write2_b32 v60, v26, v59 offset0:44 offset1:94
	buffer_load_dword v26, off, s[36:39], 0 ; 4-byte Folded Reload
	v_pack_b32_f16 v25, v25, v58
	s_mov_b32 s4, 0x5040100
	v_add_u32_e32 v58, 0x600, v44
	s_waitcnt vmcnt(0)
	v_pack_b32_f16 v26, v234, v26
	ds_write2_b32 v60, v26, v25 offset0:144 offset1:194
	v_perm_b32 v25, v35, v33, s4
	v_perm_b32 v26, v36, v34, s4
	ds_write2_b32 v58, v25, v26 offset0:116 offset1:166
	v_perm_b32 v25, v37, v31, s4
	v_perm_b32 v26, v38, v32, s4
	v_add_u32_e32 v58, 0x800, v44
	ds_write2_b32 v58, v25, v26 offset0:88 offset1:138
	v_perm_b32 v25, v39, v29, s4
	v_perm_b32 v26, v40, v30, s4
	ds_write2_b32 v58, v25, v26 offset0:188 offset1:238
	v_perm_b32 v25, v42, v41, s4
	ds_write_b32 v44, v25 offset:3200
.LBB0_5:
	s_or_b64 exec, exec, s[0:1]
	s_waitcnt lgkmcnt(0)
	s_barrier
	global_load_dword v27, v[27:28], off offset:3400
	s_add_u32 s0, s12, 0xd48
	s_addc_u32 s1, s13, 0
	global_load_dword v28, v44, s[0:1] offset:340
	global_load_dword v66, v44, s[0:1] offset:680
	;; [unrolled: 1-line block ×9, first 2 shown]
	ds_read2_b32 v[25:26], v44 offset1:85
	v_add_u32_e32 v59, 0x400, v44
	v_add_u32_e32 v58, 0x600, v44
	s_mov_b32 s1, 0xbb9c
	s_movk_i32 s5, 0x3b9c
	s_waitcnt lgkmcnt(0)
	v_lshrrev_b32_e32 v60, 16, v25
	v_lshrrev_b32_e32 v61, 16, v26
	s_mov_b32 s0, 0xb8b4
	s_movk_i32 s6, 0x38b4
	s_movk_i32 s4, 0x34f2
	;; [unrolled: 1-line block ×3, first 2 shown]
	s_mov_b32 s12, 0xb4f2
	s_waitcnt vmcnt(9)
	v_mul_f16_sdwa v62, v60, v27 dst_sel:DWORD dst_unused:UNUSED_PAD src0_sel:DWORD src1_sel:WORD_1
	v_mul_f16_sdwa v63, v25, v27 dst_sel:DWORD dst_unused:UNUSED_PAD src0_sel:DWORD src1_sel:WORD_1
	v_fma_f16 v25, v25, v27, -v62
	v_fma_f16 v27, v60, v27, v63
	v_pack_b32_f16 v25, v25, v27
	s_waitcnt vmcnt(8)
	v_mul_f16_sdwa v27, v61, v28 dst_sel:DWORD dst_unused:UNUSED_PAD src0_sel:DWORD src1_sel:WORD_1
	v_mul_f16_sdwa v60, v26, v28 dst_sel:DWORD dst_unused:UNUSED_PAD src0_sel:DWORD src1_sel:WORD_1
	v_fma_f16 v26, v26, v28, -v27
	v_fma_f16 v27, v61, v28, v60
	v_pack_b32_f16 v26, v26, v27
	ds_write2_b32 v44, v25, v26 offset1:85
	ds_read2_b32 v[25:26], v44 offset0:170 offset1:255
	v_add_u32_e32 v28, 0x800, v44
	ds_read2_b32 v[60:61], v59 offset0:84 offset1:169
	ds_read2_b32 v[62:63], v58 offset0:126 offset1:211
	ds_read2_b32 v[64:65], v28 offset0:168 offset1:253
	s_waitcnt lgkmcnt(3)
	v_lshrrev_b32_e32 v27, 16, v25
	s_waitcnt vmcnt(7)
	v_mul_f16_sdwa v74, v25, v66 dst_sel:DWORD dst_unused:UNUSED_PAD src0_sel:DWORD src1_sel:WORD_1
	v_lshrrev_b32_e32 v75, 16, v26
	s_waitcnt vmcnt(6)
	v_mul_f16_sdwa v76, v26, v67 dst_sel:DWORD dst_unused:UNUSED_PAD src0_sel:DWORD src1_sel:WORD_1
	s_waitcnt lgkmcnt(2)
	v_lshrrev_b32_e32 v77, 16, v60
	s_waitcnt vmcnt(5)
	v_mul_f16_sdwa v78, v60, v68 dst_sel:DWORD dst_unused:UNUSED_PAD src0_sel:DWORD src1_sel:WORD_1
	v_lshrrev_b32_e32 v79, 16, v61
	s_waitcnt vmcnt(4)
	v_mul_f16_sdwa v80, v61, v69 dst_sel:DWORD dst_unused:UNUSED_PAD src0_sel:DWORD src1_sel:WORD_1
	;; [unrolled: 7-line block ×4, first 2 shown]
	v_mul_f16_sdwa v89, v27, v66 dst_sel:DWORD dst_unused:UNUSED_PAD src0_sel:DWORD src1_sel:WORD_1
	v_fma_f16 v27, v27, v66, v74
	v_mul_f16_sdwa v74, v75, v67 dst_sel:DWORD dst_unused:UNUSED_PAD src0_sel:DWORD src1_sel:WORD_1
	v_fma_f16 v75, v75, v67, v76
	;; [unrolled: 2-line block ×8, first 2 shown]
	v_fma_f16 v25, v25, v66, -v89
	v_fma_f16 v26, v26, v67, -v74
	;; [unrolled: 1-line block ×8, first 2 shown]
	v_pack_b32_f16 v25, v25, v27
	v_pack_b32_f16 v26, v26, v75
	;; [unrolled: 1-line block ×8, first 2 shown]
	ds_write2_b32 v44, v25, v26 offset0:170 offset1:255
	ds_write2_b32 v59, v27, v60 offset0:84 offset1:169
	;; [unrolled: 1-line block ×4, first 2 shown]
	s_waitcnt lgkmcnt(0)
	s_barrier
	ds_read2_b32 v[25:26], v44 offset0:170 offset1:255
	ds_read2_b32 v[60:61], v59 offset0:84 offset1:169
	;; [unrolled: 1-line block ×4, first 2 shown]
	ds_read2_b32 v[66:67], v44 offset1:85
	s_waitcnt lgkmcnt(0)
	v_sub_f16_e32 v72, v25, v60
	v_add_f16_e32 v27, v60, v62
	v_sub_f16_sdwa v68, v25, v64 dst_sel:DWORD dst_unused:UNUSED_PAD src0_sel:WORD_1 src1_sel:WORD_1
	v_fma_f16 v27, v27, -0.5, v66
	v_sub_f16_sdwa v69, v60, v62 dst_sel:DWORD dst_unused:UNUSED_PAD src0_sel:WORD_1 src1_sel:WORD_1
	v_fma_f16 v70, v68, s1, v27
	v_sub_f16_e32 v71, v64, v62
	v_fma_f16 v27, v68, s5, v27
	v_fma_f16 v70, v69, s0, v70
	v_add_f16_e32 v71, v72, v71
	v_fma_f16 v27, v69, s6, v27
	v_fma_f16 v70, v71, s4, v70
	;; [unrolled: 1-line block ×3, first 2 shown]
	v_add_f16_e32 v71, v25, v64
	v_fma_f16 v71, v71, -0.5, v66
	v_fma_f16 v72, v69, s5, v71
	v_sub_f16_e32 v73, v62, v64
	v_sub_f16_e32 v74, v60, v25
	v_fma_f16 v69, v69, s1, v71
	v_fma_f16 v72, v68, s0, v72
	v_add_f16_e32 v73, v74, v73
	v_fma_f16 v68, v68, s6, v69
	v_pk_add_f16 v69, v66, v25
	v_add_f16_sdwa v71, v60, v62 dst_sel:DWORD dst_unused:UNUSED_PAD src0_sel:WORD_1 src1_sel:WORD_1
	v_lshrrev_b32_e32 v66, 16, v66
	v_fma_f16 v72, v73, s4, v72
	v_fma_f16 v68, v73, s4, v68
	v_fma_f16 v71, v71, -0.5, v66
	v_sub_f16_e32 v73, v25, v64
	v_fma_f16 v74, v73, s5, v71
	v_sub_f16_e32 v75, v60, v62
	v_sub_f16_sdwa v76, v25, v60 dst_sel:DWORD dst_unused:UNUSED_PAD src0_sel:WORD_1 src1_sel:WORD_1
	v_sub_f16_sdwa v77, v64, v62 dst_sel:DWORD dst_unused:UNUSED_PAD src0_sel:WORD_1 src1_sel:WORD_1
	v_fma_f16 v71, v73, s1, v71
	v_fma_f16 v74, v75, s6, v74
	v_add_f16_e32 v76, v76, v77
	v_fma_f16 v71, v75, s0, v71
	v_fma_f16 v74, v76, s4, v74
	;; [unrolled: 1-line block ×3, first 2 shown]
	v_add_f16_sdwa v76, v25, v64 dst_sel:DWORD dst_unused:UNUSED_PAD src0_sel:WORD_1 src1_sel:WORD_1
	v_pk_add_f16 v69, v69, v60
	v_fma_f16 v66, v76, -0.5, v66
	v_pk_add_f16 v69, v69, v62
	v_fma_f16 v76, v75, s1, v66
	v_sub_f16_sdwa v25, v60, v25 dst_sel:DWORD dst_unused:UNUSED_PAD src0_sel:WORD_1 src1_sel:WORD_1
	v_sub_f16_sdwa v60, v62, v64 dst_sel:DWORD dst_unused:UNUSED_PAD src0_sel:WORD_1 src1_sel:WORD_1
	v_fma_f16 v62, v75, s5, v66
	v_fma_f16 v76, v73, s6, v76
	v_add_f16_e32 v25, v25, v60
	v_fma_f16 v62, v73, s0, v62
	v_fma_f16 v60, v25, s4, v76
	;; [unrolled: 1-line block ×3, first 2 shown]
	v_add_f16_e32 v25, v61, v63
	v_pk_add_f16 v69, v69, v64
	v_fma_f16 v25, v25, -0.5, v67
	v_sub_f16_sdwa v64, v26, v65 dst_sel:DWORD dst_unused:UNUSED_PAD src0_sel:WORD_1 src1_sel:WORD_1
	v_fma_f16 v66, v64, s1, v25
	v_sub_f16_sdwa v73, v61, v63 dst_sel:DWORD dst_unused:UNUSED_PAD src0_sel:WORD_1 src1_sel:WORD_1
	v_sub_f16_e32 v75, v65, v63
	v_sub_f16_e32 v76, v26, v61
	v_fma_f16 v25, v64, s5, v25
	v_fma_f16 v66, v73, s0, v66
	v_add_f16_e32 v75, v76, v75
	v_fma_f16 v25, v73, s6, v25
	v_fma_f16 v66, v75, s4, v66
	;; [unrolled: 1-line block ×3, first 2 shown]
	v_add_f16_e32 v25, v26, v65
	v_fma_f16 v25, v25, -0.5, v67
	v_fma_f16 v76, v73, s5, v25
	v_sub_f16_e32 v77, v63, v65
	v_sub_f16_e32 v78, v61, v26
	v_fma_f16 v25, v73, s1, v25
	v_add_f16_e32 v77, v78, v77
	v_fma_f16 v25, v64, s6, v25
	v_fma_f16 v76, v64, s0, v76
	;; [unrolled: 1-line block ×3, first 2 shown]
	v_pk_add_f16 v25, v67, v26
	v_pk_add_f16 v25, v25, v61
	;; [unrolled: 1-line block ×4, first 2 shown]
	v_add_f16_sdwa v25, v61, v63 dst_sel:DWORD dst_unused:UNUSED_PAD src0_sel:WORD_1 src1_sel:WORD_1
	v_lshrrev_b32_e32 v67, 16, v67
	v_fma_f16 v76, v77, s4, v76
	v_fma_f16 v25, v25, -0.5, v67
	v_sub_f16_e32 v77, v26, v65
	v_fma_f16 v78, v77, s5, v25
	v_sub_f16_e32 v79, v61, v63
	v_sub_f16_sdwa v80, v26, v61 dst_sel:DWORD dst_unused:UNUSED_PAD src0_sel:WORD_1 src1_sel:WORD_1
	v_sub_f16_sdwa v81, v65, v63 dst_sel:DWORD dst_unused:UNUSED_PAD src0_sel:WORD_1 src1_sel:WORD_1
	v_fma_f16 v25, v77, s1, v25
	v_fma_f16 v78, v79, s6, v78
	v_add_f16_e32 v80, v80, v81
	v_fma_f16 v25, v79, s0, v25
	v_fma_f16 v78, v80, s4, v78
	;; [unrolled: 1-line block ×3, first 2 shown]
	v_add_f16_sdwa v25, v26, v65 dst_sel:DWORD dst_unused:UNUSED_PAD src0_sel:WORD_1 src1_sel:WORD_1
	v_fma_f16 v25, v25, -0.5, v67
	v_fma_f16 v67, v79, s1, v25
	v_sub_f16_sdwa v26, v61, v26 dst_sel:DWORD dst_unused:UNUSED_PAD src0_sel:WORD_1 src1_sel:WORD_1
	v_sub_f16_sdwa v61, v63, v65 dst_sel:DWORD dst_unused:UNUSED_PAD src0_sel:WORD_1 src1_sel:WORD_1
	v_fma_f16 v25, v79, s5, v25
	v_fma_f16 v67, v77, s6, v67
	v_add_f16_e32 v26, v26, v61
	v_fma_f16 v25, v77, s0, v25
	v_fma_f16 v61, v26, s4, v67
	;; [unrolled: 1-line block ×3, first 2 shown]
	v_mul_f16_e32 v25, 0xb8b4, v78
	v_fma_f16 v63, v66, s7, v25
	v_mul_f16_e32 v25, 0xbb9c, v61
	v_fma_f16 v67, v76, s4, v25
	v_mul_f16_e32 v25, 0xbb9c, v26
	v_mul_f16_e32 v66, 0x38b4, v66
	;; [unrolled: 1-line block ×4, first 2 shown]
	v_fma_f16 v79, v64, s12, v25
	v_mul_f16_e32 v25, 0xb8b4, v80
	s_mov_b32 s12, 0xba79
	v_fma_f16 v66, v78, s7, v66
	v_fma_f16 v61, v76, s5, v61
	;; [unrolled: 1-line block ×3, first 2 shown]
	v_mul_f16_e32 v80, 0xba79, v80
	v_add_f16_e32 v65, v70, v63
	v_add_f16_e32 v77, v72, v67
	;; [unrolled: 1-line block ×3, first 2 shown]
	v_fma_f16 v82, v75, s12, v25
	v_add_f16_e32 v78, v74, v66
	v_add_f16_e32 v76, v60, v61
	;; [unrolled: 1-line block ×3, first 2 shown]
	v_fma_f16 v75, v75, s6, v80
	v_add_f16_e32 v83, v27, v82
	v_pk_add_f16 v25, v69, v73
	v_add_f16_e32 v80, v71, v75
	v_sub_f16_e32 v63, v70, v63
	v_sub_f16_e32 v67, v72, v67
	;; [unrolled: 1-line block ×5, first 2 shown]
	v_pack_b32_f16 v61, v81, v64
	v_pack_b32_f16 v60, v77, v76
	;; [unrolled: 1-line block ×3, first 2 shown]
	v_sub_f16_e32 v68, v68, v79
	v_sub_f16_e32 v27, v27, v82
	;; [unrolled: 1-line block ×3, first 2 shown]
	s_barrier
	ds_write2_b64 v55, v[25:26], v[60:61] offset1:1
	v_pk_add_f16 v26, v69, v73 neg_lo:[0,1] neg_hi:[0,1]
	v_pack_b32_f16 v61, v67, v70
	v_pack_b32_f16 v60, v63, v66
	;; [unrolled: 1-line block ×3, first 2 shown]
	ds_write2_b64 v55, v[25:26], v[60:61] offset0:2 offset1:3
	v_pack_b32_f16 v26, v27, v71
	v_pack_b32_f16 v25, v68, v62
	ds_write_b64 v55, v[25:26] offset:32
	s_waitcnt lgkmcnt(0)
	s_barrier
	ds_read2_b32 v[25:26], v44 offset1:85
	ds_read2_b32 v[60:61], v44 offset0:170 offset1:255
	ds_read2_b32 v[62:63], v59 offset0:84 offset1:169
	;; [unrolled: 1-line block ×4, first 2 shown]
	s_waitcnt lgkmcnt(4)
	v_lshrrev_b32_e32 v55, 16, v25
	s_waitcnt lgkmcnt(3)
	v_lshrrev_b32_e32 v27, 16, v60
	v_mul_f16_sdwa v76, v4, v27 dst_sel:DWORD dst_unused:UNUSED_PAD src0_sel:WORD_1 src1_sel:DWORD
	s_waitcnt lgkmcnt(2)
	v_lshrrev_b32_e32 v68, 16, v62
	v_fma_f16 v76, v4, v60, v76
	v_mul_f16_sdwa v60, v4, v60 dst_sel:DWORD dst_unused:UNUSED_PAD src0_sel:WORD_1 src1_sel:DWORD
	v_fma_f16 v4, v4, v27, -v60
	v_mul_f16_sdwa v27, v5, v68 dst_sel:DWORD dst_unused:UNUSED_PAD src0_sel:WORD_1 src1_sel:DWORD
	s_waitcnt lgkmcnt(1)
	v_lshrrev_b32_e32 v69, 16, v64
	v_fma_f16 v60, v5, v62, v27
	v_mul_f16_sdwa v27, v5, v62 dst_sel:DWORD dst_unused:UNUSED_PAD src0_sel:WORD_1 src1_sel:DWORD
	v_fma_f16 v5, v5, v68, -v27
	;; [unrolled: 6-line block ×3, first 2 shown]
	v_mul_f16_sdwa v6, v7, v70 dst_sel:DWORD dst_unused:UNUSED_PAD src0_sel:WORD_1 src1_sel:DWORD
	v_lshrrev_b32_e32 v72, 16, v61
	v_fma_f16 v68, v7, v66, v6
	v_mul_f16_sdwa v6, v7, v66 dst_sel:DWORD dst_unused:UNUSED_PAD src0_sel:WORD_1 src1_sel:DWORD
	v_fma_f16 v69, v7, v70, -v6
	v_mul_f16_sdwa v6, v0, v72 dst_sel:DWORD dst_unused:UNUSED_PAD src0_sel:WORD_1 src1_sel:DWORD
	v_lshrrev_b32_e32 v73, 16, v63
	v_fma_f16 v70, v0, v61, v6
	v_mul_f16_sdwa v6, v0, v61 dst_sel:DWORD dst_unused:UNUSED_PAD src0_sel:WORD_1 src1_sel:DWORD
	v_fma_f16 v72, v0, v72, -v6
	;; [unrolled: 5-line block ×4, first 2 shown]
	v_mul_f16_sdwa v0, v3, v75 dst_sel:DWORD dst_unused:UNUSED_PAD src0_sel:WORD_1 src1_sel:DWORD
	v_fma_f16 v65, v3, v67, v0
	v_mul_f16_sdwa v0, v3, v67 dst_sel:DWORD dst_unused:UNUSED_PAD src0_sel:WORD_1 src1_sel:DWORD
	v_add_f16_e32 v1, v60, v62
	v_fma_f16 v67, v3, v75, -v0
	v_fma_f16 v2, v1, -0.5, v25
	v_sub_f16_e32 v3, v4, v69
	v_fma_f16 v1, v3, s1, v2
	v_sub_f16_e32 v7, v5, v64
	v_sub_f16_e32 v6, v76, v60
	v_sub_f16_e32 v27, v68, v62
	v_fma_f16 v2, v3, s5, v2
	v_fma_f16 v1, v7, s0, v1
	v_add_f16_e32 v6, v6, v27
	v_fma_f16 v2, v7, s6, v2
	v_fma_f16 v1, v6, s4, v1
	;; [unrolled: 1-line block ×3, first 2 shown]
	v_add_f16_e32 v6, v76, v68
	v_add_f16_e32 v0, v25, v76
	v_fma_f16 v25, v6, -0.5, v25
	v_fma_f16 v6, v7, s5, v25
	v_sub_f16_e32 v27, v60, v76
	v_sub_f16_e32 v63, v62, v68
	v_fma_f16 v7, v7, s1, v25
	v_fma_f16 v6, v3, s0, v6
	v_add_f16_e32 v27, v27, v63
	v_fma_f16 v3, v3, s6, v7
	v_fma_f16 v7, v27, s4, v3
	v_add_f16_e32 v3, v55, v4
	v_add_f16_e32 v3, v3, v5
	;; [unrolled: 1-line block ×3, first 2 shown]
	v_fma_f16 v6, v27, s4, v6
	v_add_f16_e32 v27, v3, v69
	v_add_f16_e32 v3, v5, v64
	;; [unrolled: 1-line block ×3, first 2 shown]
	v_fma_f16 v3, v3, -0.5, v55
	v_sub_f16_e32 v25, v76, v68
	v_add_f16_e32 v0, v0, v62
	v_fma_f16 v63, v25, s5, v3
	v_sub_f16_e32 v62, v60, v62
	v_fma_f16 v60, v62, s6, v63
	v_sub_f16_e32 v63, v4, v5
	v_sub_f16_e32 v66, v69, v64
	v_fma_f16 v3, v25, s1, v3
	v_add_f16_e32 v63, v63, v66
	v_fma_f16 v3, v62, s0, v3
	v_fma_f16 v66, v63, s4, v60
	;; [unrolled: 1-line block ×3, first 2 shown]
	v_add_f16_e32 v3, v4, v69
	v_fma_f16 v3, v3, -0.5, v55
	v_fma_f16 v55, v62, s1, v3
	v_sub_f16_e32 v4, v5, v4
	v_sub_f16_e32 v5, v64, v69
	v_fma_f16 v3, v62, s5, v3
	v_fma_f16 v55, v25, s6, v55
	v_add_f16_e32 v4, v4, v5
	v_fma_f16 v3, v25, s0, v3
	v_fma_f16 v64, v4, s4, v55
	;; [unrolled: 1-line block ×3, first 2 shown]
	v_add_f16_e32 v4, v61, v77
	v_fma_f16 v4, v4, -0.5, v26
	v_sub_f16_e32 v55, v72, v67
	v_add_f16_e32 v0, v0, v68
	v_fma_f16 v5, v55, s1, v4
	v_sub_f16_e32 v62, v73, v74
	v_sub_f16_e32 v25, v70, v61
	;; [unrolled: 1-line block ×3, first 2 shown]
	v_fma_f16 v4, v55, s5, v4
	v_fma_f16 v5, v62, s0, v5
	v_add_f16_e32 v68, v25, v68
	v_fma_f16 v4, v62, s6, v4
	v_fma_f16 v25, v68, s4, v5
	;; [unrolled: 1-line block ×3, first 2 shown]
	v_add_f16_e32 v4, v70, v65
	v_fma_f16 v4, v4, -0.5, v26
	v_lshrrev_b32_e32 v71, 16, v26
	v_add_f16_e32 v3, v26, v70
	v_fma_f16 v26, v62, s5, v4
	v_fma_f16 v4, v62, s1, v4
	;; [unrolled: 1-line block ×4, first 2 shown]
	v_add_f16_e32 v55, v71, v72
	v_sub_f16_e32 v68, v61, v70
	v_sub_f16_e32 v69, v77, v65
	v_add_f16_e32 v55, v55, v73
	v_add_f16_e32 v68, v68, v69
	;; [unrolled: 1-line block ×4, first 2 shown]
	v_fma_f16 v26, v68, s4, v26
	v_fma_f16 v4, v68, s4, v4
	v_add_f16_e32 v68, v55, v67
	v_add_f16_e32 v55, v73, v74
	;; [unrolled: 1-line block ×3, first 2 shown]
	v_fma_f16 v55, v55, -0.5, v71
	v_sub_f16_e32 v62, v70, v65
	v_add_f16_e32 v3, v3, v65
	v_fma_f16 v65, v62, s5, v55
	v_sub_f16_e32 v69, v61, v77
	v_fma_f16 v61, v69, s6, v65
	v_sub_f16_e32 v65, v72, v73
	v_sub_f16_e32 v70, v67, v74
	v_fma_f16 v55, v62, s1, v55
	v_add_f16_e32 v70, v65, v70
	v_fma_f16 v55, v69, s0, v55
	v_fma_f16 v65, v70, s4, v61
	;; [unrolled: 1-line block ×3, first 2 shown]
	v_add_f16_e32 v55, v72, v67
	v_fma_f16 v55, v55, -0.5, v71
	v_fma_f16 v70, v69, s1, v55
	v_sub_f16_e32 v71, v73, v72
	v_sub_f16_e32 v67, v74, v67
	v_fma_f16 v55, v69, s5, v55
	v_add_f16_e32 v71, v71, v67
	v_fma_f16 v55, v62, s0, v55
	v_fma_f16 v70, v62, s6, v70
	;; [unrolled: 1-line block ×3, first 2 shown]
	v_pack_b32_f16 v55, v0, v27
	v_pack_b32_f16 v69, v1, v66
	s_barrier
	ds_write2_b32 v56, v55, v69 offset1:10
	v_pack_b32_f16 v55, v6, v64
	v_pack_b32_f16 v69, v7, v63
	ds_write2_b32 v56, v55, v69 offset0:20 offset1:30
	v_pack_b32_f16 v55, v2, v60
	v_fma_f16 v67, v71, s4, v70
	ds_write_b32 v56, v55 offset:160
	v_pack_b32_f16 v55, v3, v68
	v_pack_b32_f16 v56, v25, v65
	ds_write2_b32 v57, v55, v56 offset1:10
	v_pack_b32_f16 v55, v26, v67
	v_pack_b32_f16 v56, v4, v62
	ds_write2_b32 v57, v55, v56 offset0:20 offset1:30
	v_pack_b32_f16 v55, v5, v61
	ds_write_b32 v57, v55 offset:160
	s_waitcnt lgkmcnt(0)
	s_barrier
	s_and_saveexec_b64 s[0:1], vcc
	s_cbranch_execz .LBB0_7
; %bb.6:
	ds_read2_b32 v[0:1], v44 offset1:50
	ds_read2_b32 v[6:7], v44 offset0:100 offset1:150
	ds_read2_b32 v[2:3], v44 offset0:200 offset1:250
	;; [unrolled: 1-line block ×7, first 2 shown]
	ds_read_b32 v41, v44 offset:3200
	s_waitcnt lgkmcnt(8)
	v_lshrrev_b32_e32 v27, 16, v0
	v_lshrrev_b32_e32 v66, 16, v1
	s_waitcnt lgkmcnt(7)
	v_lshrrev_b32_e32 v64, 16, v6
	v_lshrrev_b32_e32 v63, 16, v7
	;; [unrolled: 3-line block ×8, first 2 shown]
	s_waitcnt lgkmcnt(0)
	v_lshrrev_b32_e32 v42, 16, v41
.LBB0_7:
	s_or_b64 exec, exec, s[0:1]
	s_and_saveexec_b64 s[0:1], vcc
	s_cbranch_execz .LBB0_9
; %bb.8:
	v_mul_f16_sdwa v58, v16, v66 dst_sel:DWORD dst_unused:UNUSED_PAD src0_sel:WORD_1 src1_sel:DWORD
	v_mul_f16_sdwa v28, v23, v41 dst_sel:DWORD dst_unused:UNUSED_PAD src0_sel:WORD_1 src1_sel:DWORD
	;; [unrolled: 1-line block ×3, first 2 shown]
	v_fma_f16 v58, v16, v1, v58
	v_mul_f16_sdwa v1, v23, v42 dst_sel:DWORD dst_unused:UNUSED_PAD src0_sel:WORD_1 src1_sel:DWORD
	v_fma_f16 v28, v23, v42, -v28
	v_fma_f16 v42, v23, v41, v1
	v_mul_f16_sdwa v41, v17, v6 dst_sel:DWORD dst_unused:UNUSED_PAD src0_sel:WORD_1 src1_sel:DWORD
	v_fma_f16 v56, v16, v66, -v55
	v_mul_f16_sdwa v23, v22, v30 dst_sel:DWORD dst_unused:UNUSED_PAD src0_sel:WORD_1 src1_sel:DWORD
	v_fma_f16 v59, v17, v64, -v41
	v_mul_f16_sdwa v64, v17, v64 dst_sel:DWORD dst_unused:UNUSED_PAD src0_sel:WORD_1 src1_sel:DWORD
	v_add_f16_e32 v57, v28, v56
	v_fma_f16 v23, v22, v40, -v23
	v_fma_f16 v64, v17, v6, v64
	v_mul_f16_sdwa v6, v22, v40 dst_sel:DWORD dst_unused:UNUSED_PAD src0_sel:WORD_1 src1_sel:DWORD
	v_mul_f16_e32 v55, 0xbbdd, v57
	v_sub_f16_e32 v1, v58, v42
	s_movk_i32 s18, 0x31e1
	v_add_f16_e32 v66, v23, v59
	v_fma_f16 v30, v22, v30, v6
	v_fma_f16 v16, v1, s18, v55
	v_mul_f16_e32 v41, 0x3b76, v66
	v_sub_f16_e32 v6, v64, v30
	s_mov_b32 s7, 0xb5c8
	v_add_f16_e32 v16, v27, v16
	v_fma_f16 v17, v6, s7, v41
	v_add_f16_e32 v16, v17, v16
	v_mul_f16_sdwa v17, v21, v29 dst_sel:DWORD dst_unused:UNUSED_PAD src0_sel:WORD_1 src1_sel:DWORD
	v_fma_f16 v40, v21, v39, -v17
	v_mul_f16_sdwa v17, v18, v7 dst_sel:DWORD dst_unused:UNUSED_PAD src0_sel:WORD_1 src1_sel:DWORD
	v_fma_f16 v69, v18, v63, -v17
	v_mul_f16_sdwa v17, v18, v63 dst_sel:DWORD dst_unused:UNUSED_PAD src0_sel:WORD_1 src1_sel:DWORD
	v_fma_f16 v63, v18, v7, v17
	v_mul_f16_sdwa v7, v21, v39 dst_sel:DWORD dst_unused:UNUSED_PAD src0_sel:WORD_1 src1_sel:DWORD
	v_add_f16_e32 v70, v40, v69
	v_fma_f16 v29, v21, v29, v7
	v_mul_f16_e32 v71, 0xbacd, v70
	v_sub_f16_e32 v7, v63, v29
	s_movk_i32 s16, 0x3836
	v_fma_f16 v17, v7, s16, v71
	v_add_f16_e32 v16, v17, v16
	v_mul_f16_sdwa v17, v20, v32 dst_sel:DWORD dst_unused:UNUSED_PAD src0_sel:WORD_1 src1_sel:DWORD
	v_fma_f16 v39, v20, v38, -v17
	v_mul_f16_sdwa v17, v19, v2 dst_sel:DWORD dst_unused:UNUSED_PAD src0_sel:WORD_1 src1_sel:DWORD
	v_fma_f16 v72, v19, v60, -v17
	v_mul_f16_sdwa v17, v19, v60 dst_sel:DWORD dst_unused:UNUSED_PAD src0_sel:WORD_1 src1_sel:DWORD
	v_fma_f16 v60, v19, v2, v17
	v_mul_f16_sdwa v2, v20, v38 dst_sel:DWORD dst_unused:UNUSED_PAD src0_sel:WORD_1 src1_sel:DWORD
	v_add_f16_e32 v73, v39, v72
	v_fma_f16 v32, v20, v32, v2
	v_mul_f16_e32 v74, 0x39e9, v73
	v_sub_f16_e32 v2, v60, v32
	s_mov_b32 s14, 0xb964
	v_fma_f16 v17, v2, s14, v74
	v_add_f16_e32 v16, v17, v16
	v_mul_f16_sdwa v17, v15, v31 dst_sel:DWORD dst_unused:UNUSED_PAD src0_sel:WORD_1 src1_sel:DWORD
	v_fma_f16 v38, v15, v37, -v17
	v_mul_f16_sdwa v17, v8, v3 dst_sel:DWORD dst_unused:UNUSED_PAD src0_sel:WORD_1 src1_sel:DWORD
	v_fma_f16 v75, v8, v68, -v17
	v_mul_f16_sdwa v17, v8, v68 dst_sel:DWORD dst_unused:UNUSED_PAD src0_sel:WORD_1 src1_sel:DWORD
	v_fma_f16 v68, v8, v3, v17
	v_mul_f16_sdwa v3, v15, v37 dst_sel:DWORD dst_unused:UNUSED_PAD src0_sel:WORD_1 src1_sel:DWORD
	v_add_f16_e32 v76, v38, v75
	v_fma_f16 v31, v15, v31, v3
	v_mul_f16_e32 v77, 0xb8d2, v76
	v_sub_f16_e32 v3, v68, v31
	s_movk_i32 s28, 0x3a62
	v_fma_f16 v8, v3, s28, v77
	v_add_f16_e32 v15, v8, v16
	v_mul_f16_sdwa v8, v14, v34 dst_sel:DWORD dst_unused:UNUSED_PAD src0_sel:WORD_1 src1_sel:DWORD
	v_fma_f16 v37, v14, v36, -v8
	v_mul_f16_sdwa v8, v9, v25 dst_sel:DWORD dst_unused:UNUSED_PAD src0_sel:WORD_1 src1_sel:DWORD
	v_fma_f16 v78, v9, v65, -v8
	v_mul_f16_sdwa v8, v9, v65 dst_sel:DWORD dst_unused:UNUSED_PAD src0_sel:WORD_1 src1_sel:DWORD
	v_fma_f16 v25, v9, v25, v8
	v_mul_f16_sdwa v8, v14, v36 dst_sel:DWORD dst_unused:UNUSED_PAD src0_sel:WORD_1 src1_sel:DWORD
	v_add_f16_e32 v79, v37, v78
	v_fma_f16 v34, v14, v34, v8
	v_mul_f16_e32 v80, 0x3722, v79
	v_sub_f16_e32 v8, v25, v34
	s_mov_b32 s19, 0xbb29
	v_fma_f16 v9, v8, s19, v80
	v_add_f16_e32 v14, v9, v15
	v_mul_f16_sdwa v9, v13, v33 dst_sel:DWORD dst_unused:UNUSED_PAD src0_sel:WORD_1 src1_sel:DWORD
	v_fma_f16 v36, v13, v35, -v9
	v_mul_f16_sdwa v9, v10, v26 dst_sel:DWORD dst_unused:UNUSED_PAD src0_sel:WORD_1 src1_sel:DWORD
	v_fma_f16 v65, v10, v67, -v9
	v_mul_f16_sdwa v9, v10, v67 dst_sel:DWORD dst_unused:UNUSED_PAD src0_sel:WORD_1 src1_sel:DWORD
	v_fma_f16 v26, v10, v26, v9
	v_mul_f16_sdwa v9, v13, v35 dst_sel:DWORD dst_unused:UNUSED_PAD src0_sel:WORD_1 src1_sel:DWORD
	v_fma_f16 v33, v13, v33, v9
	v_mul_f16_sdwa v13, v12, v5 dst_sel:DWORD dst_unused:UNUSED_PAD src0_sel:WORD_1 src1_sel:DWORD
	v_fma_f16 v35, v12, v61, -v13
	v_mul_f16_sdwa v13, v11, v4 dst_sel:DWORD dst_unused:UNUSED_PAD src0_sel:WORD_1 src1_sel:DWORD
	v_fma_f16 v67, v11, v62, -v13
	v_mul_f16_sdwa v13, v11, v62 dst_sel:DWORD dst_unused:UNUSED_PAD src0_sel:WORD_1 src1_sel:DWORD
	v_add_f16_e32 v81, v36, v65
	v_fma_f16 v62, v11, v4, v13
	v_mul_f16_sdwa v4, v12, v61 dst_sel:DWORD dst_unused:UNUSED_PAD src0_sel:WORD_1 src1_sel:DWORD
	v_mul_f16_e32 v82, 0xb461, v81
	v_sub_f16_e32 v9, v26, v33
	s_movk_i32 s24, 0x3bb2
	v_add_f16_e32 v83, v35, v67
	v_fma_f16 v61, v12, v5, v4
	v_fma_f16 v10, v9, s24, v82
	v_mul_f16_e32 v84, 0x2de8, v83
	v_sub_f16_e32 v5, v62, v61
	s_mov_b32 s22, 0xbbf7
	v_add_f16_e32 v10, v10, v14
	v_fma_f16 v4, v5, s22, v84
	v_sub_f16_e32 v85, v56, v28
	s_mov_b32 s4, 0xbbdd
	v_add_f16_e32 v4, v4, v10
	v_add_f16_e32 v10, v42, v58
	v_mul_f16_e32 v86, 0xb1e1, v85
	v_fma_f16 v11, v10, s4, v86
	v_sub_f16_e32 v87, v59, v23
	s_movk_i32 s5, 0x3b76
	v_add_f16_e32 v12, v0, v11
	v_add_f16_e32 v11, v30, v64
	v_mul_f16_e32 v88, 0x35c8, v87
	v_fma_f16 v13, v11, s5, v88
	v_sub_f16_e32 v89, v69, v40
	s_mov_b32 s6, 0xbacd
	v_add_f16_e32 v13, v13, v12
	v_add_f16_e32 v12, v29, v63
	v_mul_f16_e32 v90, 0xb836, v89
	v_fma_f16 v14, v12, s6, v90
	v_sub_f16_e32 v91, v72, v39
	s_movk_i32 s12, 0x39e9
	v_add_f16_e32 v14, v14, v13
	v_add_f16_e32 v13, v32, v60
	v_mul_f16_e32 v92, 0x3964, v91
	;; [unrolled: 12-line block ×4, first 2 shown]
	v_fma_f16 v19, v18, s20, v100
	v_mul_f16_e32 v101, 0xbacd, v57
	v_add_f16_e32 v15, v19, v15
	v_fma_f16 v19, v1, s16, v101
	v_mul_f16_e32 v102, 0x3722, v66
	s_movk_i32 s31, 0x3bf7
	v_add_f16_e32 v19, v27, v19
	v_fma_f16 v20, v6, s19, v102
	v_mul_f16_e32 v103, 0x2de8, v70
	s_mov_b32 s25, 0xba62
	v_add_f16_e32 v19, v20, v19
	v_fma_f16 v20, v7, s31, v103
	v_mul_f16_e32 v104, 0xb8d2, v73
	s_movk_i32 s26, 0x35c8
	v_add_f16_e32 v19, v20, v19
	v_fma_f16 v20, v2, s25, v104
	v_mul_f16_e32 v105, 0x3b76, v76
	v_add_f16_e32 v19, v20, v19
	v_fma_f16 v20, v3, s26, v105
	v_mul_f16_e32 v106, 0xbbdd, v79
	;; [unrolled: 3-line block ×13, first 2 shown]
	s_mov_b32 s27, 0xbbb2
	v_add_f16_e32 v20, v21, v20
	v_fma_f16 v21, v1, s28, v117
	v_mul_f16_e32 v118, 0xb461, v66
	v_add_f16_e32 v21, v27, v21
	v_fma_f16 v22, v6, s27, v118
	v_mul_f16_e32 v119, 0x3b76, v70
	;; [unrolled: 3-line block ×4, first 2 shown]
	s_movk_i32 s30, 0x3964
	v_add_f16_e32 v21, v22, v21
	v_fma_f16 v22, v3, s22, v121
	v_mul_f16_e32 v122, 0x39e9, v79
	v_add_f16_e32 v21, v22, v21
	v_fma_f16 v22, v8, s30, v122
	v_mul_f16_e32 v123, 0xbbdd, v81
	v_add_f16_e32 v21, v22, v21
	v_fma_f16 v22, v9, s18, v123
	v_mul_f16_e32 v124, 0x3722, v83
	v_add_f16_e32 v21, v22, v21
	v_fma_f16 v22, v5, s19, v124
	v_mul_f16_e32 v125, 0xba62, v85
	v_add_f16_e32 v21, v22, v21
	v_fma_f16 v22, v10, s13, v125
	v_mul_f16_e32 v126, 0x3bb2, v87
	v_add_f16_e32 v22, v0, v22
	v_fma_f16 v127, v11, s17, v126
	v_add_f16_e32 v22, v127, v22
	v_mul_f16_e32 v127, 0xb5c8, v89
	v_fma_f16 v128, v12, s5, v127
	v_add_f16_e32 v22, v128, v22
	v_mul_f16_e32 v128, 0xb836, v91
	v_fma_f16 v129, v13, s6, v128
	v_add_f16_e32 v22, v129, v22
	v_mul_f16_e32 v129, 0x3bf7, v93
	v_fma_f16 v130, v14, s20, v129
	v_add_f16_e32 v22, v130, v22
	v_mul_f16_e32 v130, 0xb964, v95
	v_fma_f16 v131, v16, s12, v130
	v_add_f16_e32 v22, v131, v22
	v_mul_f16_e32 v131, 0xb1e1, v97
	v_fma_f16 v132, v17, s4, v131
	v_add_f16_e32 v22, v132, v22
	v_mul_f16_e32 v132, 0x3b29, v99
	v_fma_f16 v133, v18, s15, v132
	v_add_f16_e32 v22, v133, v22
	v_mul_f16_e32 v133, 0xb461, v57
	s_mov_b32 s23, 0xb836
	v_fma_f16 v134, v1, s24, v133
	v_mul_f16_e32 v135, 0xbacd, v66
	v_add_f16_e32 v134, v27, v134
	v_fma_f16 v136, v6, s23, v135
	v_add_f16_e32 v134, v136, v134
	v_mul_f16_e32 v136, 0x39e9, v70
	v_fma_f16 v137, v7, s14, v136
	s_movk_i32 s29, 0x3b29
	v_add_f16_e32 v134, v137, v134
	v_mul_f16_e32 v137, 0x3722, v73
	v_add_f16_e32 v58, v0, v58
	v_fma_f16 v138, v2, s29, v137
	v_add_f16_e32 v58, v64, v58
	v_add_f16_e32 v134, v138, v134
	v_mul_f16_e32 v138, 0xbbdd, v76
	v_add_f16_e32 v58, v63, v58
	v_fma_f16 v139, v3, s18, v138
	v_add_f16_e32 v58, v60, v58
	;; [unrolled: 5-line block ×3, first 2 shown]
	v_add_f16_e32 v134, v140, v134
	v_mul_f16_e32 v140, 0x3b76, v81
	v_add_f16_e32 v25, v26, v25
	v_add_f16_e32 v26, v56, v27
	v_fma_f16 v141, v9, s26, v140
	v_add_f16_e32 v26, v59, v26
	v_add_f16_e32 v134, v141, v134
	v_mul_f16_e32 v141, 0xb8d2, v83
	v_add_f16_e32 v26, v69, v26
	v_fma_f16 v142, v5, s28, v141
	v_add_f16_e32 v26, v72, v26
	v_add_f16_e32 v134, v142, v134
	v_mul_f16_e32 v142, 0xbbb2, v85
	v_add_f16_e32 v26, v75, v26
	v_fma_f16 v143, v10, s17, v142
	v_mul_f16_e32 v144, 0x3836, v87
	v_add_f16_e32 v26, v78, v26
	v_add_f16_e32 v143, v0, v143
	v_fma_f16 v145, v11, s6, v144
	v_add_f16_e32 v26, v65, v26
	v_add_f16_e32 v143, v145, v143
	v_mul_f16_e32 v145, 0x3964, v89
	v_add_f16_e32 v26, v67, v26
	v_fma_f16 v146, v12, s12, v145
	v_add_f16_e32 v26, v35, v26
	v_add_f16_e32 v143, v146, v143
	v_mul_f16_e32 v146, 0xbb29, v91
	;; [unrolled: 5-line block ×3, first 2 shown]
	v_add_f16_e32 v26, v38, v26
	v_fma_f16 v148, v14, s4, v147
	v_add_f16_e32 v26, v39, v26
	s_mov_b32 s21, 0xb1e1
	v_add_f16_e32 v143, v148, v143
	v_mul_f16_e32 v148, 0x3bf7, v95
	v_add_f16_e32 v26, v40, v26
	v_fma_f16 v149, v16, s20, v148
	v_add_f16_e32 v23, v23, v26
	v_fma_f16 v26, v1, s21, v55
	v_add_f16_e32 v143, v149, v143
	v_mul_f16_e32 v149, 0xb5c8, v97
	v_add_f16_e32 v23, v28, v23
	v_add_f16_e32 v26, v27, v26
	v_fma_f16 v28, v6, s26, v41
	v_fma_f16 v150, v17, s5, v149
	v_add_f16_e32 v26, v28, v26
	v_fma_f16 v28, v7, s23, v71
	v_add_f16_e32 v143, v150, v143
	v_mul_f16_e32 v150, 0xba62, v99
	v_add_f16_e32 v25, v62, v25
	v_add_f16_e32 v26, v28, v26
	v_fma_f16 v28, v2, s30, v74
	v_fma_f16 v151, v18, s13, v150
	v_add_f16_e32 v25, v61, v25
	v_add_f16_e32 v26, v28, v26
	v_fma_f16 v28, v3, s25, v77
	v_add_f16_e32 v143, v151, v143
	v_mul_f16_e32 v151, 0x2de8, v57
	v_add_f16_e32 v25, v33, v25
	v_add_f16_e32 v26, v28, v26
	v_fma_f16 v28, v8, s29, v80
	v_fma_f16 v152, v1, s31, v151
	v_mul_f16_e32 v153, 0xbbdd, v66
	v_add_f16_e32 v25, v34, v25
	v_add_f16_e32 v26, v28, v26
	v_fma_f16 v28, v9, s27, v82
	v_add_f16_e32 v152, v27, v152
	v_fma_f16 v154, v6, s18, v153
	v_add_f16_e32 v25, v31, v25
	v_add_f16_e32 v26, v28, v26
	v_fma_f16 v28, v5, s31, v84
	v_add_f16_e32 v152, v154, v152
	v_mul_f16_e32 v154, 0xb461, v70
	v_add_f16_e32 v25, v32, v25
	v_add_f16_e32 v26, v28, v26
	v_fma_f16 v28, v10, s4, -v86
	v_fma_f16 v155, v7, s27, v154
	v_add_f16_e32 v25, v29, v25
	v_add_f16_e32 v28, v0, v28
	v_fma_f16 v29, v11, s5, -v88
	v_add_f16_e32 v152, v155, v152
	v_mul_f16_e32 v155, 0x3b76, v73
	v_add_f16_e32 v28, v29, v28
	v_fma_f16 v29, v12, s6, -v90
	v_fma_f16 v156, v2, s7, v155
	v_add_f16_e32 v28, v29, v28
	v_fma_f16 v29, v13, s12, -v92
	v_add_f16_e32 v152, v156, v152
	v_mul_f16_e32 v156, 0x3722, v76
	v_add_f16_e32 v28, v29, v28
	v_fma_f16 v29, v14, s13, -v94
	v_fma_f16 v157, v3, s29, v156
	v_add_f16_e32 v28, v29, v28
	v_fma_f16 v29, v16, s15, -v96
	v_add_f16_e32 v152, v157, v152
	v_mul_f16_e32 v157, 0xbacd, v79
	v_add_f16_e32 v28, v29, v28
	v_fma_f16 v29, v17, s17, -v98
	v_fma_f16 v158, v8, s16, v157
	v_add_f16_e32 v28, v29, v28
	v_fma_f16 v29, v18, s20, -v100
	v_add_f16_e32 v152, v158, v152
	v_mul_f16_e32 v158, 0xb8d2, v81
	v_add_f16_e32 v28, v29, v28
	v_fma_f16 v29, v1, s23, v101
	v_fma_f16 v159, v9, s25, v158
	v_add_f16_e32 v25, v30, v25
	v_add_f16_e32 v29, v27, v29
	v_fma_f16 v30, v6, s29, v102
	v_add_f16_e32 v152, v159, v152
	v_mul_f16_e32 v159, 0x39e9, v83
	v_add_f16_e32 v29, v30, v29
	v_fma_f16 v30, v7, s22, v103
	v_fma_f16 v160, v5, s14, v159
	v_add_f16_e32 v29, v30, v29
	v_fma_f16 v30, v2, s28, v104
	v_add_f16_e32 v152, v160, v152
	v_mul_f16_e32 v160, 0xbbf7, v85
	v_add_f16_e32 v29, v30, v29
	v_fma_f16 v30, v3, s7, v105
	v_fma_f16 v161, v10, s20, v160
	v_mul_f16_e32 v162, 0xb1e1, v87
	v_add_f16_e32 v29, v30, v29
	v_fma_f16 v30, v8, s21, v106
	v_add_f16_e32 v161, v0, v161
	v_fma_f16 v163, v11, s4, v162
	;; [unrolled: 2-line block ×3, first 2 shown]
	v_add_f16_e32 v161, v163, v161
	v_mul_f16_e32 v163, 0x3bb2, v89
	v_add_f16_e32 v29, v30, v29
	v_fma_f16 v30, v5, s27, v108
	v_fma_f16 v164, v12, s17, v163
	v_add_f16_e32 v29, v30, v29
	v_fma_f16 v30, v10, s6, -v109
	v_add_f16_e32 v161, v164, v161
	v_mul_f16_e32 v164, 0x35c8, v91
	v_add_f16_e32 v30, v0, v30
	v_fma_f16 v31, v11, s15, -v110
	v_fma_f16 v165, v13, s5, v164
	v_add_f16_e32 v30, v31, v30
	v_fma_f16 v31, v12, s20, -v111
	v_add_f16_e32 v161, v165, v161
	v_mul_f16_e32 v165, 0xbb29, v93
	v_add_f16_e32 v30, v31, v30
	v_fma_f16 v31, v13, s13, -v112
	;; [unrolled: 7-line block ×4, first 2 shown]
	v_fma_f16 v168, v17, s13, v167
	v_add_f16_e32 v30, v31, v30
	v_fma_f16 v31, v1, s25, v117
	v_add_f16_e32 v161, v168, v161
	v_mul_f16_e32 v168, 0x3964, v99
	v_add_f16_e32 v31, v27, v31
	v_fma_f16 v32, v6, s24, v118
	v_fma_f16 v169, v18, s12, v168
	v_add_f16_e32 v31, v32, v31
	v_fma_f16 v32, v7, s7, v119
	v_add_f16_e32 v161, v169, v161
	v_mul_f16_e32 v169, 0x3722, v57
	v_add_f16_e32 v31, v32, v31
	v_fma_f16 v32, v2, s23, v120
	v_fma_f16 v170, v1, s29, v169
	v_mul_f16_e32 v171, 0xb8d2, v66
	v_add_f16_e32 v31, v32, v31
	v_fma_f16 v32, v3, s31, v121
	v_add_f16_e32 v170, v27, v170
	v_fma_f16 v172, v6, s28, v171
	;; [unrolled: 2-line block ×3, first 2 shown]
	v_add_f16_e32 v170, v172, v170
	v_mul_f16_e32 v172, 0xbbdd, v70
	v_add_f16_e32 v31, v32, v31
	v_fma_f16 v32, v9, s21, v123
	v_fma_f16 v173, v7, s21, v172
	v_add_f16_e32 v31, v32, v31
	v_fma_f16 v32, v5, s29, v124
	v_add_f16_e32 v170, v173, v170
	v_mul_f16_e32 v173, 0xb461, v73
	v_add_f16_e32 v31, v32, v31
	v_fma_f16 v32, v10, s13, -v125
	v_fma_f16 v174, v2, s27, v173
	v_add_f16_e32 v32, v0, v32
	v_fma_f16 v33, v11, s17, -v126
	v_add_f16_e32 v170, v174, v170
	v_mul_f16_e32 v174, 0x39e9, v76
	v_add_f16_e32 v32, v33, v32
	v_fma_f16 v33, v12, s5, -v127
	v_fma_f16 v175, v3, s14, v174
	v_add_f16_e32 v32, v33, v32
	v_fma_f16 v33, v13, s6, -v128
	;; [unrolled: 7-line block ×4, first 2 shown]
	v_add_f16_e32 v170, v177, v170
	v_mul_f16_e32 v177, 0xbacd, v83
	v_add_f16_e32 v32, v33, v32
	v_fma_f16 v33, v1, s27, v133
	v_fma_f16 v178, v5, s16, v177
	v_add_f16_e32 v33, v27, v33
	v_fma_f16 v34, v6, s16, v135
	v_add_f16_e32 v170, v178, v170
	v_mul_f16_e32 v178, 0xbb29, v85
	v_add_f16_e32 v33, v34, v33
	v_fma_f16 v34, v7, s30, v136
	v_fma_f16 v179, v10, s15, v178
	v_mul_f16_e32 v180, 0xba62, v87
	v_add_f16_e32 v33, v34, v33
	v_fma_f16 v34, v2, s19, v137
	v_add_f16_e32 v179, v0, v179
	v_fma_f16 v181, v11, s13, v180
	;; [unrolled: 2-line block ×3, first 2 shown]
	v_add_f16_e32 v179, v181, v179
	v_mul_f16_e32 v181, 0x31e1, v89
	v_add_f16_e32 v33, v34, v33
	v_fma_f16 v34, v8, s31, v139
	v_fma_f16 v182, v12, s4, v181
	v_add_f16_e32 v33, v34, v33
	v_fma_f16 v34, v9, s7, v140
	v_add_f16_e32 v179, v182, v179
	v_mul_f16_e32 v182, 0x3bb2, v91
	v_add_f16_e32 v33, v34, v33
	v_fma_f16 v34, v5, s25, v141
	v_fma_f16 v183, v13, s17, v182
	v_add_f16_e32 v33, v34, v33
	v_fma_f16 v34, v10, s17, -v142
	v_add_f16_e32 v179, v183, v179
	v_mul_f16_e32 v183, 0x3964, v93
	v_add_f16_e32 v34, v0, v34
	v_fma_f16 v35, v11, s6, -v144
	v_fma_f16 v184, v14, s12, v183
	v_add_f16_e32 v34, v35, v34
	v_fma_f16 v35, v12, s12, -v145
	v_add_f16_e32 v179, v184, v179
	v_mul_f16_e32 v184, 0xb5c8, v95
	v_add_f16_e32 v34, v35, v34
	v_fma_f16 v35, v13, s15, -v146
	;; [unrolled: 7-line block ×4, first 2 shown]
	v_fma_f16 v187, v18, s6, v186
	v_add_f16_e32 v34, v35, v34
	v_fma_f16 v35, v1, s22, v151
	v_add_f16_e32 v179, v187, v179
	v_mul_f16_e32 v187, 0x39e9, v57
	v_add_f16_e32 v35, v27, v35
	v_fma_f16 v36, v6, s21, v153
	v_fma_f16 v188, v1, s30, v187
	v_mul_f16_e32 v189, 0x2de8, v66
	v_add_f16_e32 v35, v36, v35
	v_fma_f16 v36, v7, s24, v154
	v_add_f16_e32 v188, v27, v188
	v_fma_f16 v190, v6, s31, v189
	;; [unrolled: 2-line block ×3, first 2 shown]
	v_add_f16_e32 v188, v190, v188
	v_mul_f16_e32 v190, 0xb8d2, v70
	v_add_f16_e32 v35, v36, v35
	v_fma_f16 v36, v3, s19, v156
	v_fma_f16 v191, v7, s28, v190
	v_add_f16_e32 v35, v36, v35
	v_fma_f16 v36, v8, s23, v157
	v_add_f16_e32 v188, v191, v188
	v_mul_f16_e32 v191, 0xbbdd, v73
	v_add_f16_e32 v35, v36, v35
	v_fma_f16 v36, v9, s28, v158
	v_fma_f16 v192, v2, s18, v191
	v_add_f16_e32 v35, v36, v35
	v_fma_f16 v36, v5, s30, v159
	v_add_f16_e32 v188, v192, v188
	v_mul_f16_e32 v192, 0xbacd, v76
	v_add_f16_e32 v35, v36, v35
	v_fma_f16 v36, v10, s20, -v160
	v_fma_f16 v193, v3, s23, v192
	v_add_f16_e32 v36, v0, v36
	v_fma_f16 v37, v11, s4, -v162
	v_add_f16_e32 v188, v193, v188
	v_mul_f16_e32 v193, 0xb461, v79
	v_add_f16_e32 v36, v37, v36
	v_fma_f16 v37, v12, s17, -v163
	v_fma_f16 v194, v8, s27, v193
	v_add_f16_e32 v36, v37, v36
	v_fma_f16 v37, v13, s5, -v164
	v_add_f16_e32 v188, v194, v188
	v_mul_f16_e32 v194, 0x3722, v81
	v_add_f16_e32 v36, v37, v36
	v_fma_f16 v37, v14, s15, -v165
	v_fma_f16 v195, v9, s19, v194
	v_add_f16_e32 v36, v37, v36
	v_fma_f16 v37, v16, s6, -v166
	v_add_f16_e32 v188, v195, v188
	v_mul_f16_e32 v195, 0x3b76, v83
	v_add_f16_e32 v36, v37, v36
	v_fma_f16 v37, v17, s13, -v167
	v_fma_f16 v196, v5, s7, v195
	v_add_f16_e32 v36, v37, v36
	v_fma_f16 v37, v18, s12, -v168
	v_add_f16_e32 v188, v196, v188
	v_mul_f16_e32 v196, 0xb964, v85
	v_add_f16_e32 v36, v37, v36
	v_fma_f16 v37, v1, s19, v169
	v_fma_f16 v197, v10, s12, v196
	v_mul_f16_e32 v198, 0xbbf7, v87
	v_add_f16_e32 v37, v27, v37
	v_fma_f16 v38, v6, s25, v171
	v_add_f16_e32 v197, v0, v197
	v_fma_f16 v199, v11, s20, v198
	;; [unrolled: 2-line block ×3, first 2 shown]
	v_add_f16_e32 v197, v199, v197
	v_mul_f16_e32 v199, 0xba62, v89
	v_add_f16_e32 v37, v38, v37
	v_fma_f16 v38, v2, s24, v173
	v_fma_f16 v200, v12, s13, v199
	v_add_f16_e32 v37, v38, v37
	v_fma_f16 v38, v3, s30, v174
	v_add_f16_e32 v197, v200, v197
	v_mul_f16_e32 v200, 0xb1e1, v91
	v_add_f16_e32 v37, v38, v37
	v_fma_f16 v38, v8, s7, v175
	v_fma_f16 v201, v13, s4, v200
	v_add_f16_e32 v37, v38, v37
	v_fma_f16 v38, v9, s22, v176
	v_add_f16_e32 v197, v201, v197
	v_mul_f16_e32 v201, 0x3836, v93
	v_add_f16_e32 v37, v38, v37
	v_fma_f16 v38, v5, s23, v177
	v_fma_f16 v202, v14, s6, v201
	v_add_f16_e32 v37, v38, v37
	v_fma_f16 v38, v10, s15, -v178
	v_add_f16_e32 v197, v202, v197
	v_mul_f16_e32 v202, 0x3bb2, v95
	v_add_f16_e32 v38, v0, v38
	v_fma_f16 v39, v11, s13, -v180
	v_fma_f16 v203, v16, s17, v202
	v_add_f16_e32 v38, v39, v38
	v_fma_f16 v39, v12, s4, -v181
	v_add_f16_e32 v197, v203, v197
	v_mul_f16_e32 v203, 0x3b29, v97
	v_add_f16_e32 v38, v39, v38
	v_fma_f16 v39, v13, s17, -v182
	;; [unrolled: 7-line block ×3, first 2 shown]
	v_fma_f16 v205, v18, s5, v204
	v_mul_f16_e32 v57, 0x3b76, v57
	v_add_f16_e32 v38, v39, v38
	v_fma_f16 v39, v17, s20, -v185
	v_add_f16_e32 v197, v205, v197
	v_fma_f16 v205, v1, s26, v57
	v_mul_f16_e32 v66, 0x39e9, v66
	v_add_f16_e32 v38, v39, v38
	v_fma_f16 v39, v18, s6, -v186
	v_add_f16_e32 v205, v27, v205
	v_fma_f16 v206, v6, s30, v66
	v_mul_f16_e32 v70, 0x3722, v70
	v_add_f16_e32 v38, v39, v38
	v_fma_f16 v39, v1, s14, v187
	v_fma_f16 v1, v1, s7, v57
	v_add_f16_e32 v205, v206, v205
	v_fma_f16 v206, v7, s29, v70
	v_mul_f16_e32 v73, 0x2de8, v73
	v_add_f16_e32 v39, v27, v39
	v_fma_f16 v40, v6, s22, v189
	v_add_f16_e32 v1, v27, v1
	v_fma_f16 v6, v6, s14, v66
	v_add_f16_e32 v205, v206, v205
	v_fma_f16 v206, v2, s31, v73
	v_mul_f16_e32 v76, 0xb461, v76
	v_add_f16_e32 v39, v40, v39
	v_fma_f16 v40, v7, s25, v190
	v_add_f16_e32 v1, v6, v1
	;; [unrolled: 7-line block ×7, first 2 shown]
	v_fma_f16 v2, v5, s21, v83
	v_add_f16_e32 v206, v0, v206
	v_fma_f16 v207, v11, s12, v87
	v_mul_f16_e32 v89, 0xbb29, v89
	v_add_f16_e32 v39, v40, v39
	v_fma_f16 v40, v10, s12, -v196
	v_add_f16_e32 v1, v2, v1
	v_fma_f16 v2, v10, s5, -v85
	v_add_f16_e32 v206, v207, v206
	v_fma_f16 v207, v12, s15, v89
	v_mul_f16_e32 v91, 0xbbf7, v91
	v_add_f16_e32 v40, v0, v40
	v_add_f16_e32 v0, v0, v2
	v_fma_f16 v2, v11, s12, -v87
	v_add_f16_e32 v206, v207, v206
	v_fma_f16 v207, v13, s20, v91
	v_mul_f16_e32 v93, 0xbbb2, v93
	v_add_f16_e32 v0, v2, v0
	v_fma_f16 v2, v12, s15, -v89
	v_add_f16_e32 v206, v207, v206
	v_fma_f16 v207, v14, s17, v93
	v_mul_f16_e32 v95, 0xba62, v95
	;; [unrolled: 5-line block ×4, first 2 shown]
	v_add_f16_e32 v0, v2, v0
	v_fma_f16 v2, v16, s13, -v95
	v_add_f16_e32 v206, v207, v206
	v_fma_f16 v207, v18, s4, v99
	v_add_f16_e32 v0, v2, v0
	v_fma_f16 v2, v17, s6, -v97
	v_add_f16_e32 v206, v207, v206
	v_add_f16_e32 v25, v42, v25
	v_fma_f16 v41, v11, s20, -v198
	v_add_f16_e32 v0, v2, v0
	v_fma_f16 v2, v18, s4, -v99
	;; [unrolled: 2-line block ×3, first 2 shown]
	v_add_f16_e32 v0, v2, v0
	v_pack_b32_f16 v2, v25, v23
	v_pack_b32_f16 v3, v206, v205
	v_add_f16_e32 v40, v41, v40
	v_fma_f16 v41, v13, s4, -v200
	ds_write2_b32 v44, v2, v3 offset1:50
	v_pack_b32_f16 v2, v197, v188
	v_pack_b32_f16 v3, v179, v170
	v_add_f16_e32 v40, v41, v40
	v_fma_f16 v41, v14, s6, -v201
	ds_write2_b32 v44, v2, v3 offset0:100 offset1:150
	v_pack_b32_f16 v2, v161, v152
	v_pack_b32_f16 v3, v143, v134
	v_add_f16_e32 v40, v41, v40
	v_fma_f16 v41, v16, s17, -v202
	ds_write2_b32 v44, v2, v3 offset0:200 offset1:250
	v_pack_b32_f16 v2, v22, v21
	v_pack_b32_f16 v3, v20, v19
	v_add_u32_e32 v5, 0x400, v44
	v_add_f16_e32 v40, v41, v40
	v_fma_f16 v41, v17, s15, -v203
	ds_write2_b32 v5, v2, v3 offset0:44 offset1:94
	v_pack_b32_f16 v2, v15, v4
	v_pack_b32_f16 v3, v28, v26
	v_add_f16_e32 v40, v41, v40
	v_fma_f16 v41, v18, s5, -v204
	ds_write2_b32 v5, v2, v3 offset0:144 offset1:194
	v_pack_b32_f16 v2, v30, v29
	v_pack_b32_f16 v3, v32, v31
	v_add_u32_e32 v4, 0x600, v44
	v_add_f16_e32 v40, v41, v40
	ds_write2_b32 v4, v2, v3 offset0:116 offset1:166
	v_pack_b32_f16 v2, v34, v33
	v_pack_b32_f16 v3, v36, v35
	v_add_u32_e32 v4, 0x800, v44
	ds_write2_b32 v4, v2, v3 offset0:88 offset1:138
	v_pack_b32_f16 v2, v38, v37
	v_pack_b32_f16 v3, v40, v39
	;; [unrolled: 1-line block ×3, first 2 shown]
	ds_write2_b32 v4, v2, v3 offset0:188 offset1:238
	ds_write_b32 v44, v0 offset:3200
.LBB0_9:
	s_or_b64 exec, exec, s[0:1]
	s_waitcnt lgkmcnt(0)
	s_barrier
	ds_read2_b32 v[0:1], v44 offset1:85
	s_mov_b32 s4, 0xace01346
	s_mov_b32 s5, 0x3f534679
	v_mad_u64_u32 v[4:5], s[0:1], s10, v24, 0
	s_waitcnt lgkmcnt(0)
	v_lshrrev_b32_e32 v7, 16, v0
	v_mul_f16_sdwa v2, v54, v7 dst_sel:DWORD dst_unused:UNUSED_PAD src0_sel:WORD_1 src1_sel:DWORD
	v_fma_f16 v2, v54, v0, v2
	v_cvt_f32_f16_e32 v2, v2
	s_movk_i32 s6, 0x1ff
	v_mad_u64_u32 v[5:6], s[0:1], s11, v24, v[5:6]
	v_cvt_f64_f32_e32 v[2:3], v2
	s_movk_i32 s7, 0xffe
	v_mul_f16_sdwa v0, v54, v0 dst_sel:DWORD dst_unused:UNUSED_PAD src0_sel:WORD_1 src1_sel:DWORD
	v_fma_f16 v0, v54, v7, -v0
	v_mul_f64 v[2:3], v[2:3], s[4:5]
	v_cvt_f32_f16_e32 v7, v0
	v_mov_b32_e32 v0, 0x7c00
	s_movk_i32 s10, 0x40f
	s_mov_b32 s11, 0x8000
	v_lshrrev_b32_e32 v11, 16, v1
	v_and_or_b32 v2, v3, s6, v2
	v_cmp_ne_u32_e32 vcc, 0, v2
	v_lshrrev_b32_e32 v6, 8, v3
	v_bfe_u32 v8, v3, 20, 11
	v_cndmask_b32_e64 v2, 0, 1, vcc
	v_sub_u32_e32 v9, 0x3f1, v8
	v_and_or_b32 v2, v6, s7, v2
	v_or_b32_e32 v6, 0x1000, v2
	v_med3_i32 v9, v9, 0, 13
	v_lshrrev_b32_e32 v10, v9, v6
	v_lshlrev_b32_e32 v9, v9, v10
	v_cmp_ne_u32_e32 vcc, v9, v6
	v_cndmask_b32_e64 v6, 0, 1, vcc
	v_add_u32_e32 v8, 0xfffffc10, v8
	v_or_b32_e32 v6, v10, v6
	v_lshl_or_b32 v9, v8, 12, v2
	v_cmp_gt_i32_e32 vcc, 1, v8
	v_cndmask_b32_e32 v6, v9, v6, vcc
	v_and_b32_e32 v9, 7, v6
	v_cmp_lt_i32_e32 vcc, 5, v9
	v_cmp_eq_u32_e64 s[0:1], 3, v9
	v_lshrrev_b32_e32 v6, 2, v6
	s_or_b64 vcc, s[0:1], vcc
	v_addc_co_u32_e32 v9, vcc, 0, v6, vcc
	v_cvt_f64_f32_e32 v[6:7], v7
	v_cmp_gt_i32_e32 vcc, 31, v8
	v_cndmask_b32_e32 v9, v0, v9, vcc
	v_cmp_ne_u32_e32 vcc, 0, v2
	v_mul_f64 v[6:7], v[6:7], s[4:5]
	v_cndmask_b32_e64 v2, 0, 1, vcc
	v_lshl_or_b32 v2, v2, 9, v0
	v_cmp_eq_u32_e32 vcc, s10, v8
	v_cndmask_b32_e32 v2, v9, v2, vcc
	v_lshrrev_b32_e32 v3, 16, v3
	v_and_or_b32 v8, v3, s11, v2
	v_and_b32_e32 v8, 0xffff, v8
	v_and_or_b32 v2, v7, s6, v6
	v_cmp_ne_u32_e32 vcc, 0, v2
	v_cndmask_b32_e64 v2, 0, 1, vcc
	v_lshrrev_b32_e32 v3, 8, v7
	v_bfe_u32 v6, v7, 20, 11
	v_and_or_b32 v2, v3, s7, v2
	v_sub_u32_e32 v9, 0x3f1, v6
	v_or_b32_e32 v3, 0x1000, v2
	v_med3_i32 v9, v9, 0, 13
	v_lshrrev_b32_e32 v10, v9, v3
	v_lshlrev_b32_e32 v9, v9, v10
	v_cmp_ne_u32_e32 vcc, v9, v3
	v_cndmask_b32_e64 v3, 0, 1, vcc
	v_add_u32_e32 v6, 0xfffffc10, v6
	v_or_b32_e32 v3, v10, v3
	v_lshl_or_b32 v9, v6, 12, v2
	v_cmp_gt_i32_e32 vcc, 1, v6
	v_cndmask_b32_e32 v3, v9, v3, vcc
	v_and_b32_e32 v9, 7, v3
	v_cmp_lt_i32_e32 vcc, 5, v9
	v_cmp_eq_u32_e64 s[0:1], 3, v9
	v_lshrrev_b32_e32 v3, 2, v3
	s_or_b64 vcc, s[0:1], vcc
	v_addc_co_u32_e32 v3, vcc, 0, v3, vcc
	v_cmp_gt_i32_e32 vcc, 31, v6
	v_cndmask_b32_e32 v9, v0, v3, vcc
	v_cmp_ne_u32_e32 vcc, 0, v2
	v_cndmask_b32_e64 v2, 0, 1, vcc
	v_lshl_or_b32 v10, v2, 9, v0
	v_mad_u64_u32 v[2:3], s[0:1], s8, v53, 0
	v_cmp_eq_u32_e32 vcc, s10, v6
	v_cndmask_b32_e32 v9, v9, v10, vcc
	v_lshrrev_b32_e32 v10, 16, v7
	v_mad_u64_u32 v[6:7], s[0:1], s9, v53, v[3:4]
	v_mul_f16_sdwa v3, v52, v11 dst_sel:DWORD dst_unused:UNUSED_PAD src0_sel:WORD_1 src1_sel:DWORD
	v_fma_f16 v3, v52, v1, v3
	v_cvt_f32_f16_e32 v7, v3
	v_mov_b32_e32 v3, v6
	v_lshlrev_b64 v[4:5], 2, v[4:5]
	v_and_or_b32 v9, v10, s11, v9
	v_cvt_f64_f32_e32 v[6:7], v7
	v_lshl_or_b32 v8, v9, 16, v8
	v_mov_b32_e32 v9, s3
	v_add_co_u32_e32 v4, vcc, s2, v4
	v_mul_f64 v[6:7], v[6:7], s[4:5]
	v_lshlrev_b64 v[2:3], 2, v[2:3]
	v_addc_co_u32_e32 v5, vcc, v9, v5, vcc
	v_add_co_u32_e32 v2, vcc, v4, v2
	v_addc_co_u32_e32 v3, vcc, v5, v3, vcc
	v_and_or_b32 v4, v7, s6, v6
	v_cmp_ne_u32_e32 vcc, 0, v4
	v_cndmask_b32_e64 v4, 0, 1, vcc
	v_lshrrev_b32_e32 v5, 8, v7
	v_and_or_b32 v6, v5, s7, v4
	v_bfe_u32 v5, v7, 20, 11
	global_store_dword v[2:3], v8, off
	v_sub_u32_e32 v8, 0x3f1, v5
	v_or_b32_e32 v4, 0x1000, v6
	v_med3_i32 v8, v8, 0, 13
	v_lshrrev_b32_e32 v9, v8, v4
	v_lshlrev_b32_e32 v8, v8, v9
	v_mul_f16_sdwa v1, v52, v1 dst_sel:DWORD dst_unused:UNUSED_PAD src0_sel:WORD_1 src1_sel:DWORD
	v_cmp_ne_u32_e32 vcc, v8, v4
	v_fma_f16 v1, v52, v11, -v1
	v_cndmask_b32_e64 v4, 0, 1, vcc
	v_add_u32_e32 v8, 0xfffffc10, v5
	v_cvt_f32_f16_e32 v1, v1
	v_or_b32_e32 v4, v9, v4
	v_lshl_or_b32 v5, v8, 12, v6
	v_cmp_gt_i32_e32 vcc, 1, v8
	v_cndmask_b32_e32 v4, v5, v4, vcc
	v_and_b32_e32 v5, 7, v4
	v_cmp_lt_i32_e32 vcc, 5, v5
	v_cmp_eq_u32_e64 s[0:1], 3, v5
	v_lshrrev_b32_e32 v9, 2, v4
	v_cvt_f64_f32_e32 v[4:5], v1
	s_or_b64 vcc, s[0:1], vcc
	v_addc_co_u32_e32 v1, vcc, 0, v9, vcc
	v_mul_f64 v[4:5], v[4:5], s[4:5]
	v_cmp_gt_i32_e32 vcc, 31, v8
	v_cndmask_b32_e32 v1, v0, v1, vcc
	v_cmp_ne_u32_e32 vcc, 0, v6
	v_cndmask_b32_e64 v6, 0, 1, vcc
	v_lshl_or_b32 v6, v6, 9, v0
	v_cmp_eq_u32_e32 vcc, s10, v8
	v_cndmask_b32_e32 v1, v1, v6, vcc
	v_and_or_b32 v4, v5, s6, v4
	v_lshrrev_b32_e32 v6, 16, v7
	v_cmp_ne_u32_e32 vcc, 0, v4
	v_and_or_b32 v1, v6, s11, v1
	v_cndmask_b32_e64 v4, 0, 1, vcc
	v_lshrrev_b32_e32 v6, 8, v5
	v_bfe_u32 v7, v5, 20, 11
	v_and_or_b32 v4, v6, s7, v4
	v_sub_u32_e32 v8, 0x3f1, v7
	v_or_b32_e32 v6, 0x1000, v4
	v_med3_i32 v8, v8, 0, 13
	v_lshrrev_b32_e32 v9, v8, v6
	v_lshlrev_b32_e32 v8, v8, v9
	v_cmp_ne_u32_e32 vcc, v8, v6
	v_cndmask_b32_e64 v6, 0, 1, vcc
	v_add_u32_e32 v8, 0xfffffc10, v7
	v_or_b32_e32 v6, v9, v6
	v_lshl_or_b32 v7, v8, 12, v4
	v_cmp_gt_i32_e32 vcc, 1, v8
	v_cndmask_b32_e32 v6, v7, v6, vcc
	v_and_b32_e32 v7, 7, v6
	v_cmp_lt_i32_e32 vcc, 5, v7
	v_cmp_eq_u32_e64 s[0:1], 3, v7
	v_lshrrev_b32_e32 v6, 2, v6
	s_or_b64 vcc, s[0:1], vcc
	v_addc_co_u32_e32 v6, vcc, 0, v6, vcc
	v_cmp_gt_i32_e32 vcc, 31, v8
	v_cndmask_b32_e32 v9, v0, v6, vcc
	ds_read2_b32 v[6:7], v44 offset0:170 offset1:255
	v_cmp_ne_u32_e32 vcc, 0, v4
	v_cndmask_b32_e64 v4, 0, 1, vcc
	v_lshl_or_b32 v4, v4, 9, v0
	v_cmp_eq_u32_e32 vcc, s10, v8
	s_waitcnt lgkmcnt(0)
	v_lshrrev_b32_e32 v8, 16, v6
	v_cndmask_b32_e32 v4, v9, v4, vcc
	v_mul_f16_sdwa v9, v51, v8 dst_sel:DWORD dst_unused:UNUSED_PAD src0_sel:WORD_1 src1_sel:DWORD
	v_fma_f16 v9, v51, v6, v9
	v_cvt_f32_f16_e32 v9, v9
	v_lshrrev_b32_e32 v5, 16, v5
	v_and_or_b32 v4, v5, s11, v4
	v_and_b32_e32 v1, 0xffff, v1
	v_lshl_or_b32 v10, v4, 16, v1
	v_cvt_f64_f32_e32 v[4:5], v9
	s_mul_i32 s0, s9, 0x154
	s_mul_hi_u32 s2, s8, 0x154
	s_add_i32 s2, s2, s0
	v_mul_f64 v[4:5], v[4:5], s[4:5]
	s_mul_i32 s3, s8, 0x154
	v_mov_b32_e32 v9, s2
	v_add_co_u32_e32 v1, vcc, s3, v2
	v_addc_co_u32_e32 v2, vcc, v3, v9, vcc
	global_store_dword v[1:2], v10, off
	v_and_or_b32 v3, v5, s6, v4
	v_cmp_ne_u32_e32 vcc, 0, v3
	v_cndmask_b32_e64 v3, 0, 1, vcc
	v_lshrrev_b32_e32 v4, 8, v5
	v_and_or_b32 v9, v4, s7, v3
	v_bfe_u32 v4, v5, 20, 11
	v_sub_u32_e32 v10, 0x3f1, v4
	v_or_b32_e32 v3, 0x1000, v9
	v_med3_i32 v10, v10, 0, 13
	v_lshrrev_b32_e32 v11, v10, v3
	v_lshlrev_b32_e32 v10, v10, v11
	v_mul_f16_sdwa v6, v51, v6 dst_sel:DWORD dst_unused:UNUSED_PAD src0_sel:WORD_1 src1_sel:DWORD
	v_cmp_ne_u32_e32 vcc, v10, v3
	v_fma_f16 v6, v51, v8, -v6
	v_cndmask_b32_e64 v3, 0, 1, vcc
	v_add_u32_e32 v10, 0xfffffc10, v4
	v_cvt_f32_f16_e32 v6, v6
	v_or_b32_e32 v3, v11, v3
	v_lshl_or_b32 v4, v10, 12, v9
	v_cmp_gt_i32_e32 vcc, 1, v10
	v_cndmask_b32_e32 v3, v4, v3, vcc
	v_and_b32_e32 v4, 7, v3
	v_cmp_lt_i32_e32 vcc, 5, v4
	v_cmp_eq_u32_e64 s[0:1], 3, v4
	v_lshrrev_b32_e32 v8, 2, v3
	v_cvt_f64_f32_e32 v[3:4], v6
	s_or_b64 vcc, s[0:1], vcc
	v_addc_co_u32_e32 v6, vcc, 0, v8, vcc
	v_mul_f64 v[3:4], v[3:4], s[4:5]
	v_cmp_gt_i32_e32 vcc, 31, v10
	v_cndmask_b32_e32 v6, v0, v6, vcc
	v_cmp_ne_u32_e32 vcc, 0, v9
	v_cndmask_b32_e64 v8, 0, 1, vcc
	v_lshl_or_b32 v8, v8, 9, v0
	v_cmp_eq_u32_e32 vcc, s10, v10
	v_cndmask_b32_e32 v6, v6, v8, vcc
	v_and_or_b32 v3, v4, s6, v3
	v_lshrrev_b32_e32 v5, 16, v5
	v_cmp_ne_u32_e32 vcc, 0, v3
	v_and_or_b32 v8, v5, s11, v6
	v_cndmask_b32_e64 v3, 0, 1, vcc
	v_lshrrev_b32_e32 v5, 8, v4
	v_bfe_u32 v6, v4, 20, 11
	v_and_or_b32 v3, v5, s7, v3
	v_sub_u32_e32 v9, 0x3f1, v6
	v_or_b32_e32 v5, 0x1000, v3
	v_med3_i32 v9, v9, 0, 13
	v_lshrrev_b32_e32 v10, v9, v5
	v_lshlrev_b32_e32 v9, v9, v10
	v_cmp_ne_u32_e32 vcc, v9, v5
	v_cndmask_b32_e64 v5, 0, 1, vcc
	v_add_u32_e32 v6, 0xfffffc10, v6
	v_or_b32_e32 v5, v10, v5
	v_lshl_or_b32 v9, v6, 12, v3
	v_cmp_gt_i32_e32 vcc, 1, v6
	v_cndmask_b32_e32 v5, v9, v5, vcc
	v_and_b32_e32 v9, 7, v5
	v_cmp_lt_i32_e32 vcc, 5, v9
	v_cmp_eq_u32_e64 s[0:1], 3, v9
	v_lshrrev_b32_e32 v9, 16, v7
	v_lshrrev_b32_e32 v5, 2, v5
	s_or_b64 vcc, s[0:1], vcc
	v_mul_f16_sdwa v10, v50, v9 dst_sel:DWORD dst_unused:UNUSED_PAD src0_sel:WORD_1 src1_sel:DWORD
	v_addc_co_u32_e32 v5, vcc, 0, v5, vcc
	v_fma_f16 v10, v50, v7, v10
	v_cmp_gt_i32_e32 vcc, 31, v6
	v_cvt_f32_f16_e32 v10, v10
	v_cndmask_b32_e32 v5, v0, v5, vcc
	v_cmp_ne_u32_e32 vcc, 0, v3
	v_cndmask_b32_e64 v3, 0, 1, vcc
	v_lshl_or_b32 v3, v3, 9, v0
	v_cmp_eq_u32_e32 vcc, s10, v6
	v_cndmask_b32_e32 v3, v5, v3, vcc
	v_cvt_f64_f32_e32 v[5:6], v10
	v_lshrrev_b32_e32 v4, 16, v4
	v_and_or_b32 v10, v4, s11, v3
	v_add_co_u32_e32 v1, vcc, s3, v1
	v_mul_f64 v[3:4], v[5:6], s[4:5]
	v_mov_b32_e32 v6, s2
	v_and_b32_e32 v8, 0xffff, v8
	v_addc_co_u32_e32 v2, vcc, v2, v6, vcc
	v_lshl_or_b32 v5, v10, 16, v8
	global_store_dword v[1:2], v5, off
	v_mul_f16_sdwa v7, v50, v7 dst_sel:DWORD dst_unused:UNUSED_PAD src0_sel:WORD_1 src1_sel:DWORD
	v_and_or_b32 v3, v4, s6, v3
	v_cmp_ne_u32_e32 vcc, 0, v3
	v_cndmask_b32_e64 v3, 0, 1, vcc
	v_lshrrev_b32_e32 v5, 8, v4
	v_bfe_u32 v6, v4, 20, 11
	v_and_or_b32 v3, v5, s7, v3
	v_sub_u32_e32 v8, 0x3f1, v6
	v_or_b32_e32 v5, 0x1000, v3
	v_med3_i32 v8, v8, 0, 13
	v_lshrrev_b32_e32 v10, v8, v5
	v_lshlrev_b32_e32 v8, v8, v10
	v_cmp_ne_u32_e32 vcc, v8, v5
	v_fma_f16 v7, v50, v9, -v7
	v_cndmask_b32_e64 v5, 0, 1, vcc
	v_add_u32_e32 v8, 0xfffffc10, v6
	v_cvt_f32_f16_e32 v7, v7
	v_or_b32_e32 v5, v10, v5
	v_lshl_or_b32 v6, v8, 12, v3
	v_cmp_gt_i32_e32 vcc, 1, v8
	v_cndmask_b32_e32 v5, v6, v5, vcc
	v_and_b32_e32 v6, 7, v5
	v_cmp_lt_i32_e32 vcc, 5, v6
	v_cmp_eq_u32_e64 s[0:1], 3, v6
	v_lshrrev_b32_e32 v9, 2, v5
	v_cvt_f64_f32_e32 v[5:6], v7
	s_or_b64 vcc, s[0:1], vcc
	v_addc_co_u32_e32 v7, vcc, 0, v9, vcc
	v_mul_f64 v[5:6], v[5:6], s[4:5]
	v_cmp_gt_i32_e32 vcc, 31, v8
	v_cndmask_b32_e32 v7, v0, v7, vcc
	v_cmp_ne_u32_e32 vcc, 0, v3
	v_cndmask_b32_e64 v3, 0, 1, vcc
	v_lshl_or_b32 v3, v3, 9, v0
	v_cmp_eq_u32_e32 vcc, s10, v8
	v_cndmask_b32_e32 v3, v7, v3, vcc
	v_lshrrev_b32_e32 v4, 16, v4
	v_and_or_b32 v9, v4, s11, v3
	v_and_or_b32 v3, v6, s6, v5
	v_cmp_ne_u32_e32 vcc, 0, v3
	v_cndmask_b32_e64 v3, 0, 1, vcc
	v_lshrrev_b32_e32 v4, 8, v6
	v_and_or_b32 v5, v4, s7, v3
	v_bfe_u32 v4, v6, 20, 11
	v_sub_u32_e32 v7, 0x3f1, v4
	v_or_b32_e32 v3, 0x1000, v5
	v_med3_i32 v7, v7, 0, 13
	v_lshrrev_b32_e32 v8, v7, v3
	v_lshlrev_b32_e32 v7, v7, v8
	v_cmp_ne_u32_e32 vcc, v7, v3
	v_cndmask_b32_e64 v3, 0, 1, vcc
	v_add_u32_e32 v7, 0xfffffc10, v4
	v_or_b32_e32 v3, v8, v3
	v_lshl_or_b32 v4, v7, 12, v5
	v_cmp_gt_i32_e32 vcc, 1, v7
	v_cndmask_b32_e32 v3, v4, v3, vcc
	v_and_b32_e32 v4, 7, v3
	v_cmp_lt_i32_e32 vcc, 5, v4
	v_cmp_eq_u32_e64 s[0:1], 3, v4
	v_lshrrev_b32_e32 v3, 2, v3
	s_or_b64 vcc, s[0:1], vcc
	v_addc_co_u32_e32 v8, vcc, 0, v3, vcc
	v_add_u32_e32 v3, 0x400, v44
	ds_read2_b32 v[3:4], v3 offset0:84 offset1:169
	v_cmp_gt_i32_e32 vcc, 31, v7
	v_cndmask_b32_e32 v8, v0, v8, vcc
	v_cmp_ne_u32_e32 vcc, 0, v5
	v_cndmask_b32_e64 v5, 0, 1, vcc
	s_waitcnt lgkmcnt(0)
	v_lshrrev_b32_e32 v10, 16, v3
	v_mul_f16_sdwa v11, v49, v10 dst_sel:DWORD dst_unused:UNUSED_PAD src0_sel:WORD_1 src1_sel:DWORD
	v_fma_f16 v11, v49, v3, v11
	v_cvt_f32_f16_e32 v11, v11
	v_lshl_or_b32 v5, v5, 9, v0
	v_cmp_eq_u32_e32 vcc, s10, v7
	v_cndmask_b32_e32 v5, v8, v5, vcc
	v_cvt_f64_f32_e32 v[7:8], v11
	v_lshrrev_b32_e32 v6, 16, v6
	v_and_or_b32 v11, v6, s11, v5
	v_add_co_u32_e32 v1, vcc, s3, v1
	v_mul_f64 v[5:6], v[7:8], s[4:5]
	v_mov_b32_e32 v8, s2
	v_and_b32_e32 v9, 0xffff, v9
	v_addc_co_u32_e32 v2, vcc, v2, v8, vcc
	v_lshl_or_b32 v7, v11, 16, v9
	global_store_dword v[1:2], v7, off
	v_mul_f16_sdwa v3, v49, v3 dst_sel:DWORD dst_unused:UNUSED_PAD src0_sel:WORD_1 src1_sel:DWORD
	v_and_or_b32 v5, v6, s6, v5
	v_cmp_ne_u32_e32 vcc, 0, v5
	v_cndmask_b32_e64 v5, 0, 1, vcc
	v_lshrrev_b32_e32 v7, 8, v6
	v_bfe_u32 v8, v6, 20, 11
	v_and_or_b32 v5, v7, s7, v5
	v_sub_u32_e32 v9, 0x3f1, v8
	v_or_b32_e32 v7, 0x1000, v5
	v_med3_i32 v9, v9, 0, 13
	v_lshrrev_b32_e32 v11, v9, v7
	v_lshlrev_b32_e32 v9, v9, v11
	v_cmp_ne_u32_e32 vcc, v9, v7
	v_fma_f16 v3, v49, v10, -v3
	v_cndmask_b32_e64 v7, 0, 1, vcc
	v_add_u32_e32 v9, 0xfffffc10, v8
	v_cvt_f32_f16_e32 v3, v3
	v_or_b32_e32 v7, v11, v7
	v_lshl_or_b32 v8, v9, 12, v5
	v_cmp_gt_i32_e32 vcc, 1, v9
	v_cndmask_b32_e32 v7, v8, v7, vcc
	v_and_b32_e32 v8, 7, v7
	v_cmp_lt_i32_e32 vcc, 5, v8
	v_cmp_eq_u32_e64 s[0:1], 3, v8
	v_lshrrev_b32_e32 v10, 2, v7
	v_cvt_f64_f32_e32 v[7:8], v3
	s_or_b64 vcc, s[0:1], vcc
	v_addc_co_u32_e32 v3, vcc, 0, v10, vcc
	v_mul_f64 v[7:8], v[7:8], s[4:5]
	v_cmp_gt_i32_e32 vcc, 31, v9
	v_cndmask_b32_e32 v3, v0, v3, vcc
	v_cmp_ne_u32_e32 vcc, 0, v5
	v_cndmask_b32_e64 v5, 0, 1, vcc
	v_lshl_or_b32 v5, v5, 9, v0
	v_cmp_eq_u32_e32 vcc, s10, v9
	v_cndmask_b32_e32 v3, v3, v5, vcc
	v_lshrrev_b32_e32 v5, 16, v6
	v_and_or_b32 v3, v5, s11, v3
	v_and_or_b32 v5, v8, s6, v7
	v_cmp_ne_u32_e32 vcc, 0, v5
	v_cndmask_b32_e64 v5, 0, 1, vcc
	v_lshrrev_b32_e32 v6, 8, v8
	v_bfe_u32 v7, v8, 20, 11
	v_and_or_b32 v5, v6, s7, v5
	v_sub_u32_e32 v9, 0x3f1, v7
	v_or_b32_e32 v6, 0x1000, v5
	v_med3_i32 v9, v9, 0, 13
	v_lshrrev_b32_e32 v10, v9, v6
	v_lshlrev_b32_e32 v9, v9, v10
	v_cmp_ne_u32_e32 vcc, v9, v6
	v_cndmask_b32_e64 v6, 0, 1, vcc
	v_add_u32_e32 v7, 0xfffffc10, v7
	v_or_b32_e32 v6, v10, v6
	v_lshl_or_b32 v9, v7, 12, v5
	v_cmp_gt_i32_e32 vcc, 1, v7
	v_cndmask_b32_e32 v6, v9, v6, vcc
	v_and_b32_e32 v9, 7, v6
	v_cmp_lt_i32_e32 vcc, 5, v9
	v_cmp_eq_u32_e64 s[0:1], 3, v9
	v_lshrrev_b32_e32 v9, 16, v4
	v_lshrrev_b32_e32 v6, 2, v6
	s_or_b64 vcc, s[0:1], vcc
	v_mul_f16_sdwa v10, v48, v9 dst_sel:DWORD dst_unused:UNUSED_PAD src0_sel:WORD_1 src1_sel:DWORD
	v_addc_co_u32_e32 v6, vcc, 0, v6, vcc
	v_fma_f16 v10, v48, v4, v10
	v_cmp_gt_i32_e32 vcc, 31, v7
	v_cvt_f32_f16_e32 v10, v10
	v_cndmask_b32_e32 v6, v0, v6, vcc
	v_cmp_ne_u32_e32 vcc, 0, v5
	v_cndmask_b32_e64 v5, 0, 1, vcc
	v_lshl_or_b32 v5, v5, 9, v0
	v_cmp_eq_u32_e32 vcc, s10, v7
	v_cndmask_b32_e32 v7, v6, v5, vcc
	v_cvt_f64_f32_e32 v[5:6], v10
	v_lshrrev_b32_e32 v8, 16, v8
	v_and_or_b32 v7, v8, s11, v7
	v_and_b32_e32 v3, 0xffff, v3
	v_mul_f64 v[5:6], v[5:6], s[4:5]
	v_lshl_or_b32 v3, v7, 16, v3
	v_mov_b32_e32 v7, s2
	v_add_co_u32_e32 v1, vcc, s3, v1
	v_addc_co_u32_e32 v2, vcc, v2, v7, vcc
	global_store_dword v[1:2], v3, off
	v_and_or_b32 v3, v6, s6, v5
	v_cmp_ne_u32_e32 vcc, 0, v3
	v_cndmask_b32_e64 v3, 0, 1, vcc
	v_lshrrev_b32_e32 v5, 8, v6
	v_bfe_u32 v7, v6, 20, 11
	v_and_or_b32 v5, v5, s7, v3
	v_sub_u32_e32 v8, 0x3f1, v7
	v_or_b32_e32 v3, 0x1000, v5
	v_med3_i32 v8, v8, 0, 13
	v_lshrrev_b32_e32 v10, v8, v3
	v_lshlrev_b32_e32 v8, v8, v10
	v_mul_f16_sdwa v4, v48, v4 dst_sel:DWORD dst_unused:UNUSED_PAD src0_sel:WORD_1 src1_sel:DWORD
	v_cmp_ne_u32_e32 vcc, v8, v3
	v_fma_f16 v4, v48, v9, -v4
	v_cndmask_b32_e64 v3, 0, 1, vcc
	v_add_u32_e32 v7, 0xfffffc10, v7
	v_cvt_f32_f16_e32 v4, v4
	v_or_b32_e32 v3, v10, v3
	v_lshl_or_b32 v8, v7, 12, v5
	v_cmp_gt_i32_e32 vcc, 1, v7
	v_cndmask_b32_e32 v3, v8, v3, vcc
	v_and_b32_e32 v8, 7, v3
	v_cmp_lt_i32_e32 vcc, 5, v8
	v_cmp_eq_u32_e64 s[0:1], 3, v8
	v_lshrrev_b32_e32 v8, 2, v3
	v_cvt_f64_f32_e32 v[3:4], v4
	s_or_b64 vcc, s[0:1], vcc
	v_addc_co_u32_e32 v8, vcc, 0, v8, vcc
	v_mul_f64 v[3:4], v[3:4], s[4:5]
	v_cmp_gt_i32_e32 vcc, 31, v7
	v_cndmask_b32_e32 v8, v0, v8, vcc
	v_cmp_ne_u32_e32 vcc, 0, v5
	v_cndmask_b32_e64 v5, 0, 1, vcc
	v_lshl_or_b32 v5, v5, 9, v0
	v_cmp_eq_u32_e32 vcc, s10, v7
	v_cndmask_b32_e32 v5, v8, v5, vcc
	v_and_or_b32 v3, v4, s6, v3
	v_lshrrev_b32_e32 v6, 16, v6
	v_cmp_ne_u32_e32 vcc, 0, v3
	v_and_or_b32 v9, v6, s11, v5
	v_cndmask_b32_e64 v3, 0, 1, vcc
	v_lshrrev_b32_e32 v5, 8, v4
	v_bfe_u32 v6, v4, 20, 11
	v_and_or_b32 v3, v5, s7, v3
	v_sub_u32_e32 v7, 0x3f1, v6
	v_or_b32_e32 v5, 0x1000, v3
	v_med3_i32 v7, v7, 0, 13
	v_lshrrev_b32_e32 v8, v7, v5
	v_lshlrev_b32_e32 v7, v7, v8
	v_cmp_ne_u32_e32 vcc, v7, v5
	v_cndmask_b32_e64 v5, 0, 1, vcc
	v_add_u32_e32 v7, 0xfffffc10, v6
	v_or_b32_e32 v5, v8, v5
	v_lshl_or_b32 v6, v7, 12, v3
	v_cmp_gt_i32_e32 vcc, 1, v7
	v_cndmask_b32_e32 v5, v6, v5, vcc
	v_and_b32_e32 v6, 7, v5
	v_cmp_lt_i32_e32 vcc, 5, v6
	v_cmp_eq_u32_e64 s[0:1], 3, v6
	v_lshrrev_b32_e32 v5, 2, v5
	s_or_b64 vcc, s[0:1], vcc
	v_addc_co_u32_e32 v8, vcc, 0, v5, vcc
	v_add_u32_e32 v5, 0x600, v44
	ds_read2_b32 v[5:6], v5 offset0:126 offset1:211
	v_cmp_gt_i32_e32 vcc, 31, v7
	v_cndmask_b32_e32 v8, v0, v8, vcc
	v_cmp_ne_u32_e32 vcc, 0, v3
	v_cndmask_b32_e64 v3, 0, 1, vcc
	s_waitcnt lgkmcnt(0)
	v_lshrrev_b32_e32 v10, 16, v5
	v_mul_f16_sdwa v11, v47, v10 dst_sel:DWORD dst_unused:UNUSED_PAD src0_sel:WORD_1 src1_sel:DWORD
	v_fma_f16 v11, v47, v5, v11
	v_cvt_f32_f16_e32 v11, v11
	v_lshl_or_b32 v3, v3, 9, v0
	v_cmp_eq_u32_e32 vcc, s10, v7
	v_cndmask_b32_e32 v3, v8, v3, vcc
	v_cvt_f64_f32_e32 v[7:8], v11
	v_lshrrev_b32_e32 v4, 16, v4
	v_and_or_b32 v11, v4, s11, v3
	v_add_co_u32_e32 v1, vcc, s3, v1
	v_mul_f64 v[3:4], v[7:8], s[4:5]
	v_mov_b32_e32 v8, s2
	v_and_b32_e32 v9, 0xffff, v9
	v_addc_co_u32_e32 v2, vcc, v2, v8, vcc
	v_lshl_or_b32 v7, v11, 16, v9
	global_store_dword v[1:2], v7, off
	v_mul_f16_sdwa v5, v47, v5 dst_sel:DWORD dst_unused:UNUSED_PAD src0_sel:WORD_1 src1_sel:DWORD
	v_and_or_b32 v3, v4, s6, v3
	v_cmp_ne_u32_e32 vcc, 0, v3
	v_cndmask_b32_e64 v3, 0, 1, vcc
	v_lshrrev_b32_e32 v7, 8, v4
	v_bfe_u32 v8, v4, 20, 11
	v_and_or_b32 v3, v7, s7, v3
	v_sub_u32_e32 v9, 0x3f1, v8
	v_or_b32_e32 v7, 0x1000, v3
	v_med3_i32 v9, v9, 0, 13
	v_lshrrev_b32_e32 v11, v9, v7
	v_lshlrev_b32_e32 v9, v9, v11
	v_cmp_ne_u32_e32 vcc, v9, v7
	v_fma_f16 v5, v47, v10, -v5
	v_cndmask_b32_e64 v7, 0, 1, vcc
	v_add_u32_e32 v9, 0xfffffc10, v8
	v_cvt_f32_f16_e32 v5, v5
	v_or_b32_e32 v7, v11, v7
	v_lshl_or_b32 v8, v9, 12, v3
	v_cmp_gt_i32_e32 vcc, 1, v9
	v_cndmask_b32_e32 v7, v8, v7, vcc
	v_and_b32_e32 v8, 7, v7
	v_cmp_lt_i32_e32 vcc, 5, v8
	v_cmp_eq_u32_e64 s[0:1], 3, v8
	v_lshrrev_b32_e32 v10, 2, v7
	v_cvt_f64_f32_e32 v[7:8], v5
	s_or_b64 vcc, s[0:1], vcc
	v_addc_co_u32_e32 v5, vcc, 0, v10, vcc
	v_mul_f64 v[7:8], v[7:8], s[4:5]
	v_cmp_gt_i32_e32 vcc, 31, v9
	v_cndmask_b32_e32 v5, v0, v5, vcc
	v_cmp_ne_u32_e32 vcc, 0, v3
	v_cndmask_b32_e64 v3, 0, 1, vcc
	v_lshl_or_b32 v3, v3, 9, v0
	v_cmp_eq_u32_e32 vcc, s10, v9
	v_cndmask_b32_e32 v3, v5, v3, vcc
	v_lshrrev_b32_e32 v4, 16, v4
	v_and_or_b32 v5, v4, s11, v3
	v_and_or_b32 v3, v8, s6, v7
	v_cmp_ne_u32_e32 vcc, 0, v3
	v_cndmask_b32_e64 v3, 0, 1, vcc
	v_lshrrev_b32_e32 v4, 8, v8
	v_bfe_u32 v7, v8, 20, 11
	v_and_or_b32 v3, v4, s7, v3
	v_sub_u32_e32 v9, 0x3f1, v7
	v_or_b32_e32 v4, 0x1000, v3
	v_med3_i32 v9, v9, 0, 13
	v_lshrrev_b32_e32 v10, v9, v4
	v_lshlrev_b32_e32 v9, v9, v10
	v_cmp_ne_u32_e32 vcc, v9, v4
	v_cndmask_b32_e64 v4, 0, 1, vcc
	v_add_u32_e32 v7, 0xfffffc10, v7
	v_or_b32_e32 v4, v10, v4
	v_lshl_or_b32 v9, v7, 12, v3
	v_cmp_gt_i32_e32 vcc, 1, v7
	v_cndmask_b32_e32 v4, v9, v4, vcc
	v_and_b32_e32 v9, 7, v4
	v_cmp_lt_i32_e32 vcc, 5, v9
	v_cmp_eq_u32_e64 s[0:1], 3, v9
	v_lshrrev_b32_e32 v9, 16, v6
	v_lshrrev_b32_e32 v4, 2, v4
	s_or_b64 vcc, s[0:1], vcc
	v_mul_f16_sdwa v10, v46, v9 dst_sel:DWORD dst_unused:UNUSED_PAD src0_sel:WORD_1 src1_sel:DWORD
	v_addc_co_u32_e32 v4, vcc, 0, v4, vcc
	v_fma_f16 v10, v46, v6, v10
	v_cmp_gt_i32_e32 vcc, 31, v7
	v_cvt_f32_f16_e32 v10, v10
	v_cndmask_b32_e32 v4, v0, v4, vcc
	v_cmp_ne_u32_e32 vcc, 0, v3
	v_cndmask_b32_e64 v3, 0, 1, vcc
	v_lshl_or_b32 v3, v3, 9, v0
	v_cmp_eq_u32_e32 vcc, s10, v7
	v_cndmask_b32_e32 v7, v4, v3, vcc
	v_cvt_f64_f32_e32 v[3:4], v10
	v_lshrrev_b32_e32 v8, 16, v8
	v_and_or_b32 v7, v8, s11, v7
	v_and_b32_e32 v5, 0xffff, v5
	v_mul_f64 v[3:4], v[3:4], s[4:5]
	v_lshl_or_b32 v5, v7, 16, v5
	v_mov_b32_e32 v7, s2
	v_add_co_u32_e32 v1, vcc, s3, v1
	v_addc_co_u32_e32 v2, vcc, v2, v7, vcc
	global_store_dword v[1:2], v5, off
	v_and_or_b32 v3, v4, s6, v3
	v_cmp_ne_u32_e32 vcc, 0, v3
	v_cndmask_b32_e64 v3, 0, 1, vcc
	v_lshrrev_b32_e32 v5, 8, v4
	v_bfe_u32 v7, v4, 20, 11
	v_and_or_b32 v3, v5, s7, v3
	v_sub_u32_e32 v8, 0x3f1, v7
	v_or_b32_e32 v5, 0x1000, v3
	v_med3_i32 v8, v8, 0, 13
	v_lshrrev_b32_e32 v10, v8, v5
	v_lshlrev_b32_e32 v8, v8, v10
	v_mul_f16_sdwa v6, v46, v6 dst_sel:DWORD dst_unused:UNUSED_PAD src0_sel:WORD_1 src1_sel:DWORD
	v_cmp_ne_u32_e32 vcc, v8, v5
	v_fma_f16 v6, v46, v9, -v6
	v_cndmask_b32_e64 v5, 0, 1, vcc
	v_add_u32_e32 v7, 0xfffffc10, v7
	v_cvt_f32_f16_e32 v6, v6
	v_or_b32_e32 v5, v10, v5
	v_lshl_or_b32 v8, v7, 12, v3
	v_cmp_gt_i32_e32 vcc, 1, v7
	v_cndmask_b32_e32 v5, v8, v5, vcc
	v_and_b32_e32 v8, 7, v5
	v_cmp_lt_i32_e32 vcc, 5, v8
	v_cmp_eq_u32_e64 s[0:1], 3, v8
	v_lshrrev_b32_e32 v8, 2, v5
	v_cvt_f64_f32_e32 v[5:6], v6
	s_or_b64 vcc, s[0:1], vcc
	v_addc_co_u32_e32 v8, vcc, 0, v8, vcc
	v_mul_f64 v[5:6], v[5:6], s[4:5]
	v_cmp_gt_i32_e32 vcc, 31, v7
	v_cndmask_b32_e32 v8, v0, v8, vcc
	v_cmp_ne_u32_e32 vcc, 0, v3
	v_cndmask_b32_e64 v3, 0, 1, vcc
	v_lshl_or_b32 v3, v3, 9, v0
	v_cmp_eq_u32_e32 vcc, s10, v7
	v_cndmask_b32_e32 v3, v8, v3, vcc
	v_lshrrev_b32_e32 v4, 16, v4
	v_and_or_b32 v9, v4, s11, v3
	v_and_or_b32 v3, v6, s6, v5
	v_cmp_ne_u32_e32 vcc, 0, v3
	v_cndmask_b32_e64 v3, 0, 1, vcc
	v_lshrrev_b32_e32 v4, 8, v6
	v_and_or_b32 v5, v4, s7, v3
	v_bfe_u32 v4, v6, 20, 11
	v_sub_u32_e32 v7, 0x3f1, v4
	v_or_b32_e32 v3, 0x1000, v5
	v_med3_i32 v7, v7, 0, 13
	v_lshrrev_b32_e32 v8, v7, v3
	v_lshlrev_b32_e32 v7, v7, v8
	v_cmp_ne_u32_e32 vcc, v7, v3
	v_cndmask_b32_e64 v3, 0, 1, vcc
	v_add_u32_e32 v7, 0xfffffc10, v4
	v_or_b32_e32 v3, v8, v3
	v_lshl_or_b32 v4, v7, 12, v5
	v_cmp_gt_i32_e32 vcc, 1, v7
	v_cndmask_b32_e32 v3, v4, v3, vcc
	v_and_b32_e32 v4, 7, v3
	v_cmp_lt_i32_e32 vcc, 5, v4
	v_cmp_eq_u32_e64 s[0:1], 3, v4
	v_lshrrev_b32_e32 v3, 2, v3
	s_or_b64 vcc, s[0:1], vcc
	v_addc_co_u32_e32 v8, vcc, 0, v3, vcc
	v_add_u32_e32 v3, 0x800, v44
	ds_read2_b32 v[3:4], v3 offset0:168 offset1:253
	v_cmp_gt_i32_e32 vcc, 31, v7
	v_cndmask_b32_e32 v8, v0, v8, vcc
	v_cmp_ne_u32_e32 vcc, 0, v5
	v_cndmask_b32_e64 v5, 0, 1, vcc
	s_waitcnt lgkmcnt(0)
	v_lshrrev_b32_e32 v10, 16, v3
	v_mul_f16_sdwa v11, v45, v10 dst_sel:DWORD dst_unused:UNUSED_PAD src0_sel:WORD_1 src1_sel:DWORD
	v_fma_f16 v11, v45, v3, v11
	v_cvt_f32_f16_e32 v11, v11
	v_lshl_or_b32 v5, v5, 9, v0
	v_cmp_eq_u32_e32 vcc, s10, v7
	v_cndmask_b32_e32 v5, v8, v5, vcc
	v_cvt_f64_f32_e32 v[7:8], v11
	v_lshrrev_b32_e32 v6, 16, v6
	v_and_or_b32 v11, v6, s11, v5
	v_add_co_u32_e32 v1, vcc, s3, v1
	v_mul_f64 v[5:6], v[7:8], s[4:5]
	v_mov_b32_e32 v8, s2
	v_and_b32_e32 v9, 0xffff, v9
	v_addc_co_u32_e32 v2, vcc, v2, v8, vcc
	v_lshl_or_b32 v7, v11, 16, v9
	global_store_dword v[1:2], v7, off
	v_mul_f16_sdwa v3, v45, v3 dst_sel:DWORD dst_unused:UNUSED_PAD src0_sel:WORD_1 src1_sel:DWORD
	v_and_or_b32 v5, v6, s6, v5
	v_cmp_ne_u32_e32 vcc, 0, v5
	v_cndmask_b32_e64 v5, 0, 1, vcc
	v_lshrrev_b32_e32 v7, 8, v6
	v_bfe_u32 v8, v6, 20, 11
	v_and_or_b32 v5, v7, s7, v5
	v_sub_u32_e32 v9, 0x3f1, v8
	v_or_b32_e32 v7, 0x1000, v5
	v_med3_i32 v9, v9, 0, 13
	v_lshrrev_b32_e32 v11, v9, v7
	v_lshlrev_b32_e32 v9, v9, v11
	v_cmp_ne_u32_e32 vcc, v9, v7
	v_fma_f16 v3, v45, v10, -v3
	v_cndmask_b32_e64 v7, 0, 1, vcc
	v_add_u32_e32 v9, 0xfffffc10, v8
	v_cvt_f32_f16_e32 v3, v3
	v_or_b32_e32 v7, v11, v7
	v_lshl_or_b32 v8, v9, 12, v5
	v_cmp_gt_i32_e32 vcc, 1, v9
	v_cndmask_b32_e32 v7, v8, v7, vcc
	v_and_b32_e32 v8, 7, v7
	v_cmp_lt_i32_e32 vcc, 5, v8
	v_cmp_eq_u32_e64 s[0:1], 3, v8
	v_lshrrev_b32_e32 v10, 2, v7
	v_cvt_f64_f32_e32 v[7:8], v3
	s_or_b64 vcc, s[0:1], vcc
	v_addc_co_u32_e32 v3, vcc, 0, v10, vcc
	v_mul_f64 v[7:8], v[7:8], s[4:5]
	v_cmp_gt_i32_e32 vcc, 31, v9
	v_cndmask_b32_e32 v3, v0, v3, vcc
	v_cmp_ne_u32_e32 vcc, 0, v5
	v_cndmask_b32_e64 v5, 0, 1, vcc
	v_lshl_or_b32 v5, v5, 9, v0
	v_cmp_eq_u32_e32 vcc, s10, v9
	v_cndmask_b32_e32 v3, v3, v5, vcc
	v_lshrrev_b32_e32 v5, 16, v6
	v_and_or_b32 v3, v5, s11, v3
	v_and_or_b32 v5, v8, s6, v7
	v_cmp_ne_u32_e32 vcc, 0, v5
	v_cndmask_b32_e64 v5, 0, 1, vcc
	v_lshrrev_b32_e32 v6, 8, v8
	v_bfe_u32 v7, v8, 20, 11
	v_and_or_b32 v5, v6, s7, v5
	v_sub_u32_e32 v9, 0x3f1, v7
	v_or_b32_e32 v6, 0x1000, v5
	v_med3_i32 v9, v9, 0, 13
	v_lshrrev_b32_e32 v10, v9, v6
	v_lshlrev_b32_e32 v9, v9, v10
	v_cmp_ne_u32_e32 vcc, v9, v6
	v_cndmask_b32_e64 v6, 0, 1, vcc
	v_add_u32_e32 v7, 0xfffffc10, v7
	v_or_b32_e32 v6, v10, v6
	v_lshl_or_b32 v9, v7, 12, v5
	v_cmp_gt_i32_e32 vcc, 1, v7
	v_cndmask_b32_e32 v6, v9, v6, vcc
	v_and_b32_e32 v9, 7, v6
	v_cmp_lt_i32_e32 vcc, 5, v9
	v_cmp_eq_u32_e64 s[0:1], 3, v9
	v_lshrrev_b32_e32 v9, 16, v4
	v_lshrrev_b32_e32 v6, 2, v6
	s_or_b64 vcc, s[0:1], vcc
	v_mul_f16_sdwa v10, v43, v9 dst_sel:DWORD dst_unused:UNUSED_PAD src0_sel:WORD_1 src1_sel:DWORD
	v_addc_co_u32_e32 v6, vcc, 0, v6, vcc
	v_fma_f16 v10, v43, v4, v10
	v_cmp_gt_i32_e32 vcc, 31, v7
	v_cvt_f32_f16_e32 v10, v10
	v_cndmask_b32_e32 v6, v0, v6, vcc
	v_cmp_ne_u32_e32 vcc, 0, v5
	v_cndmask_b32_e64 v5, 0, 1, vcc
	v_lshl_or_b32 v5, v5, 9, v0
	v_cmp_eq_u32_e32 vcc, s10, v7
	v_cndmask_b32_e32 v7, v6, v5, vcc
	v_cvt_f64_f32_e32 v[5:6], v10
	v_lshrrev_b32_e32 v8, 16, v8
	v_and_or_b32 v7, v8, s11, v7
	v_and_b32_e32 v3, 0xffff, v3
	v_mul_f64 v[5:6], v[5:6], s[4:5]
	v_lshl_or_b32 v3, v7, 16, v3
	v_mov_b32_e32 v7, s2
	v_add_co_u32_e32 v1, vcc, s3, v1
	v_addc_co_u32_e32 v2, vcc, v2, v7, vcc
	global_store_dword v[1:2], v3, off
	v_and_or_b32 v3, v6, s6, v5
	v_cmp_ne_u32_e32 vcc, 0, v3
	v_cndmask_b32_e64 v3, 0, 1, vcc
	v_lshrrev_b32_e32 v5, 8, v6
	v_bfe_u32 v7, v6, 20, 11
	v_and_or_b32 v5, v5, s7, v3
	v_sub_u32_e32 v8, 0x3f1, v7
	v_or_b32_e32 v3, 0x1000, v5
	v_med3_i32 v8, v8, 0, 13
	v_lshrrev_b32_e32 v10, v8, v3
	v_lshlrev_b32_e32 v8, v8, v10
	v_mul_f16_sdwa v4, v43, v4 dst_sel:DWORD dst_unused:UNUSED_PAD src0_sel:WORD_1 src1_sel:DWORD
	v_cmp_ne_u32_e32 vcc, v8, v3
	v_fma_f16 v4, v43, v9, -v4
	v_cndmask_b32_e64 v3, 0, 1, vcc
	v_add_u32_e32 v7, 0xfffffc10, v7
	v_cvt_f32_f16_e32 v4, v4
	v_or_b32_e32 v3, v10, v3
	v_lshl_or_b32 v8, v7, 12, v5
	v_cmp_gt_i32_e32 vcc, 1, v7
	v_cndmask_b32_e32 v3, v8, v3, vcc
	v_and_b32_e32 v8, 7, v3
	v_cmp_lt_i32_e32 vcc, 5, v8
	v_cmp_eq_u32_e64 s[0:1], 3, v8
	v_lshrrev_b32_e32 v8, 2, v3
	v_cvt_f64_f32_e32 v[3:4], v4
	s_or_b64 vcc, s[0:1], vcc
	v_addc_co_u32_e32 v8, vcc, 0, v8, vcc
	v_mul_f64 v[3:4], v[3:4], s[4:5]
	v_cmp_gt_i32_e32 vcc, 31, v7
	v_cndmask_b32_e32 v8, v0, v8, vcc
	v_cmp_ne_u32_e32 vcc, 0, v5
	v_cndmask_b32_e64 v5, 0, 1, vcc
	v_lshl_or_b32 v5, v5, 9, v0
	v_cmp_eq_u32_e32 vcc, s10, v7
	v_cndmask_b32_e32 v5, v8, v5, vcc
	v_and_or_b32 v3, v4, s6, v3
	v_lshrrev_b32_e32 v6, 16, v6
	v_cmp_ne_u32_e32 vcc, 0, v3
	v_and_or_b32 v5, v6, s11, v5
	v_cndmask_b32_e64 v3, 0, 1, vcc
	v_lshrrev_b32_e32 v6, 8, v4
	v_bfe_u32 v7, v4, 20, 11
	v_and_or_b32 v3, v6, s7, v3
	v_sub_u32_e32 v8, 0x3f1, v7
	v_or_b32_e32 v6, 0x1000, v3
	v_med3_i32 v8, v8, 0, 13
	v_lshrrev_b32_e32 v9, v8, v6
	v_lshlrev_b32_e32 v8, v8, v9
	v_cmp_ne_u32_e32 vcc, v8, v6
	v_cndmask_b32_e64 v6, 0, 1, vcc
	v_add_u32_e32 v7, 0xfffffc10, v7
	v_or_b32_e32 v6, v9, v6
	v_lshl_or_b32 v8, v7, 12, v3
	v_cmp_gt_i32_e32 vcc, 1, v7
	v_cndmask_b32_e32 v6, v8, v6, vcc
	v_and_b32_e32 v8, 7, v6
	v_cmp_lt_i32_e32 vcc, 5, v8
	v_cmp_eq_u32_e64 s[0:1], 3, v8
	v_lshrrev_b32_e32 v6, 2, v6
	s_or_b64 vcc, s[0:1], vcc
	v_addc_co_u32_e32 v6, vcc, 0, v6, vcc
	v_cmp_gt_i32_e32 vcc, 31, v7
	v_cndmask_b32_e32 v6, v0, v6, vcc
	v_cmp_ne_u32_e32 vcc, 0, v3
	v_cndmask_b32_e64 v3, 0, 1, vcc
	v_lshl_or_b32 v0, v3, 9, v0
	v_cmp_eq_u32_e32 vcc, s10, v7
	v_cndmask_b32_e32 v0, v6, v0, vcc
	v_lshrrev_b32_e32 v3, 16, v4
	v_and_or_b32 v0, v3, s11, v0
	v_and_b32_e32 v3, 0xffff, v5
	v_lshl_or_b32 v3, v0, 16, v3
	v_mov_b32_e32 v4, s2
	v_add_co_u32_e32 v0, vcc, s3, v1
	v_addc_co_u32_e32 v1, vcc, v2, v4, vcc
	global_store_dword v[0:1], v3, off
.LBB0_10:
	s_endpgm
	.section	.rodata,"a",@progbits
	.p2align	6, 0x0
	.amdhsa_kernel bluestein_single_back_len850_dim1_half_op_CI_CI
		.amdhsa_group_segment_fixed_size 3400
		.amdhsa_private_segment_fixed_size 28
		.amdhsa_kernarg_size 104
		.amdhsa_user_sgpr_count 6
		.amdhsa_user_sgpr_private_segment_buffer 1
		.amdhsa_user_sgpr_dispatch_ptr 0
		.amdhsa_user_sgpr_queue_ptr 0
		.amdhsa_user_sgpr_kernarg_segment_ptr 1
		.amdhsa_user_sgpr_dispatch_id 0
		.amdhsa_user_sgpr_flat_scratch_init 0
		.amdhsa_user_sgpr_private_segment_size 0
		.amdhsa_uses_dynamic_stack 0
		.amdhsa_system_sgpr_private_segment_wavefront_offset 1
		.amdhsa_system_sgpr_workgroup_id_x 1
		.amdhsa_system_sgpr_workgroup_id_y 0
		.amdhsa_system_sgpr_workgroup_id_z 0
		.amdhsa_system_sgpr_workgroup_info 0
		.amdhsa_system_vgpr_workitem_id 0
		.amdhsa_next_free_vgpr 256
		.amdhsa_next_free_sgpr 40
		.amdhsa_reserve_vcc 1
		.amdhsa_reserve_flat_scratch 0
		.amdhsa_float_round_mode_32 0
		.amdhsa_float_round_mode_16_64 0
		.amdhsa_float_denorm_mode_32 3
		.amdhsa_float_denorm_mode_16_64 3
		.amdhsa_dx10_clamp 1
		.amdhsa_ieee_mode 1
		.amdhsa_fp16_overflow 0
		.amdhsa_exception_fp_ieee_invalid_op 0
		.amdhsa_exception_fp_denorm_src 0
		.amdhsa_exception_fp_ieee_div_zero 0
		.amdhsa_exception_fp_ieee_overflow 0
		.amdhsa_exception_fp_ieee_underflow 0
		.amdhsa_exception_fp_ieee_inexact 0
		.amdhsa_exception_int_div_zero 0
	.end_amdhsa_kernel
	.text
.Lfunc_end0:
	.size	bluestein_single_back_len850_dim1_half_op_CI_CI, .Lfunc_end0-bluestein_single_back_len850_dim1_half_op_CI_CI
                                        ; -- End function
	.section	.AMDGPU.csdata,"",@progbits
; Kernel info:
; codeLenInByte = 23052
; NumSgprs: 44
; NumVgprs: 256
; ScratchSize: 28
; MemoryBound: 0
; FloatMode: 240
; IeeeMode: 1
; LDSByteSize: 3400 bytes/workgroup (compile time only)
; SGPRBlocks: 5
; VGPRBlocks: 63
; NumSGPRsForWavesPerEU: 44
; NumVGPRsForWavesPerEU: 256
; Occupancy: 1
; WaveLimiterHint : 1
; COMPUTE_PGM_RSRC2:SCRATCH_EN: 1
; COMPUTE_PGM_RSRC2:USER_SGPR: 6
; COMPUTE_PGM_RSRC2:TRAP_HANDLER: 0
; COMPUTE_PGM_RSRC2:TGID_X_EN: 1
; COMPUTE_PGM_RSRC2:TGID_Y_EN: 0
; COMPUTE_PGM_RSRC2:TGID_Z_EN: 0
; COMPUTE_PGM_RSRC2:TIDIG_COMP_CNT: 0
	.type	__hip_cuid_8656da0eae6f83cc,@object ; @__hip_cuid_8656da0eae6f83cc
	.section	.bss,"aw",@nobits
	.globl	__hip_cuid_8656da0eae6f83cc
__hip_cuid_8656da0eae6f83cc:
	.byte	0                               ; 0x0
	.size	__hip_cuid_8656da0eae6f83cc, 1

	.ident	"AMD clang version 19.0.0git (https://github.com/RadeonOpenCompute/llvm-project roc-6.4.0 25133 c7fe45cf4b819c5991fe208aaa96edf142730f1d)"
	.section	".note.GNU-stack","",@progbits
	.addrsig
	.addrsig_sym __hip_cuid_8656da0eae6f83cc
	.amdgpu_metadata
---
amdhsa.kernels:
  - .args:
      - .actual_access:  read_only
        .address_space:  global
        .offset:         0
        .size:           8
        .value_kind:     global_buffer
      - .actual_access:  read_only
        .address_space:  global
        .offset:         8
        .size:           8
        .value_kind:     global_buffer
      - .actual_access:  read_only
        .address_space:  global
        .offset:         16
        .size:           8
        .value_kind:     global_buffer
      - .actual_access:  read_only
        .address_space:  global
        .offset:         24
        .size:           8
        .value_kind:     global_buffer
      - .actual_access:  read_only
        .address_space:  global
        .offset:         32
        .size:           8
        .value_kind:     global_buffer
      - .offset:         40
        .size:           8
        .value_kind:     by_value
      - .address_space:  global
        .offset:         48
        .size:           8
        .value_kind:     global_buffer
      - .address_space:  global
        .offset:         56
        .size:           8
        .value_kind:     global_buffer
      - .address_space:  global
        .offset:         64
        .size:           8
        .value_kind:     global_buffer
      - .address_space:  global
        .offset:         72
        .size:           8
        .value_kind:     global_buffer
      - .offset:         80
        .size:           4
        .value_kind:     by_value
      - .address_space:  global
        .offset:         88
        .size:           8
        .value_kind:     global_buffer
      - .address_space:  global
        .offset:         96
        .size:           8
        .value_kind:     global_buffer
    .group_segment_fixed_size: 3400
    .kernarg_segment_align: 8
    .kernarg_segment_size: 104
    .language:       OpenCL C
    .language_version:
      - 2
      - 0
    .max_flat_workgroup_size: 85
    .name:           bluestein_single_back_len850_dim1_half_op_CI_CI
    .private_segment_fixed_size: 28
    .sgpr_count:     44
    .sgpr_spill_count: 0
    .symbol:         bluestein_single_back_len850_dim1_half_op_CI_CI.kd
    .uniform_work_group_size: 1
    .uses_dynamic_stack: false
    .vgpr_count:     256
    .vgpr_spill_count: 6
    .wavefront_size: 64
amdhsa.target:   amdgcn-amd-amdhsa--gfx906
amdhsa.version:
  - 1
  - 2
...

	.end_amdgpu_metadata
